;; amdgpu-corpus repo=ROCm/rocFFT kind=compiled arch=gfx1201 opt=O3
	.text
	.amdgcn_target "amdgcn-amd-amdhsa--gfx1201"
	.amdhsa_code_object_version 6
	.protected	bluestein_single_fwd_len13_dim1_dp_op_CI_CI ; -- Begin function bluestein_single_fwd_len13_dim1_dp_op_CI_CI
	.globl	bluestein_single_fwd_len13_dim1_dp_op_CI_CI
	.p2align	8
	.type	bluestein_single_fwd_len13_dim1_dp_op_CI_CI,@function
bluestein_single_fwd_len13_dim1_dp_op_CI_CI: ; @bluestein_single_fwd_len13_dim1_dp_op_CI_CI
; %bb.0:
	s_load_b128 s[4:7], s[0:1], 0x28
	v_lshl_or_b32 v48, ttmp9, 6, v0
	v_mov_b32_e32 v49, 0
	s_mov_b32 s2, exec_lo
	s_wait_kmcnt 0x0
	s_delay_alu instid0(VALU_DEP_1)
	v_cmpx_gt_u64_e64 s[4:5], v[48:49]
	s_cbranch_execz .LBB0_2
; %bb.1:
	s_load_b128 s[20:23], s[0:1], 0x18
                                        ; implicit-def: $vgpr234 : SGPR spill to VGPR lane
	v_mul_u32_u24_e32 v117, 0xd0, v0
	s_mov_b32 s100, 0x66966769
	s_mov_b32 s101, 0xbfefc445
	;; [unrolled: 1-line block ×9, first 2 shown]
	s_mov_b32 vcc_hi, 0x3fefc445
	s_wait_kmcnt 0x0
	s_load_b128 s[24:27], s[20:21], 0x0
	s_wait_kmcnt 0x0
	v_mad_co_u64_u32 v[1:2], null, s26, v48, 0
	s_lshl_b64 s[2:3], s[24:25], 4
	s_delay_alu instid0(VALU_DEP_1) | instskip(SKIP_2) | instid1(VALU_DEP_1)
	v_mad_co_u64_u32 v[2:3], null, s27, v48, v[2:3]
	s_mov_b32 s26, 0x93053d00
	s_mov_b32 s27, 0xbfef11f4
	v_lshlrev_b64_e32 v[1:2], 4, v[1:2]
	s_delay_alu instid0(VALU_DEP_1) | instskip(NEXT) | instid1(VALU_DEP_2)
	v_add_co_u32 v45, vcc_lo, s6, v1
	v_add_co_ci_u32_e32 v46, vcc_lo, s7, v2, vcc_lo
	s_delay_alu instid0(VALU_DEP_2)
	v_add_co_u32 v5, vcc_lo, v45, s2
	global_load_b128 v[1:4], v[45:46], off
	s_wait_alu 0xfffd
	v_add_co_ci_u32_e32 v6, vcc_lo, s3, v46, vcc_lo
	s_lshl_b64 s[2:3], s[24:25], 5
	v_mad_co_u64_u32 v[21:22], null, s24, 48, v[45:46]
	global_load_b128 v[5:8], v[5:6], off
	s_wait_alu 0xfffe
	v_add_co_u32 v9, vcc_lo, v45, s2
	s_wait_alu 0xfffd
	v_add_co_ci_u32_e32 v10, vcc_lo, s3, v46, vcc_lo
	s_lshl_b64 s[2:3], s[24:25], 6
	v_mad_co_u64_u32 v[22:23], null, s25, 48, v[22:23]
	global_load_b128 v[9:12], v[9:10], off
	s_wait_alu 0xfffe
	v_add_co_u32 v13, vcc_lo, v45, s2
	s_wait_alu 0xfffd
	v_add_co_ci_u32_e32 v14, vcc_lo, s3, v46, vcc_lo
	s_lshl_b64 s[2:3], s[24:25], 7
	global_load_b128 v[21:24], v[21:22], off
	s_wait_alu 0xfffe
	v_add_co_u32 v17, vcc_lo, v45, s2
	global_load_b128 v[13:16], v[13:14], off
	s_wait_alu 0xfffd
	v_add_co_ci_u32_e32 v18, vcc_lo, s3, v46, vcc_lo
	s_load_b64 s[2:3], s[0:1], 0x0
	s_mov_b32 vcc_lo, s100
	global_load_b128 v[17:20], v[17:18], off
	s_wait_kmcnt 0x0
	s_clause 0x3
	s_load_b512 s[52:67], s[2:3], 0x0
	s_load_b512 s[36:51], s[2:3], 0x40
	;; [unrolled: 1-line block ×4, first 2 shown]
	s_mov_b64 s[84:85], s[2:3]
	s_mov_b32 s2, 0xb2365da1
	s_mov_b32 s3, 0xbfd6b1d8
	s_wait_kmcnt 0x0
	v_writelane_b32 v234, s68, 0
	v_writelane_b32 v234, s69, 1
	;; [unrolled: 1-line block ×16, first 2 shown]
	s_mov_b32 s80, 0x4267c47c
	s_mov_b32 s76, 0x42a4c3d2
	;; [unrolled: 1-line block ×10, first 2 shown]
	s_wait_alu 0xfffe
	s_mov_b32 s102, s78
	s_mov_b32 s73, 0x3fea55e2
	;; [unrolled: 1-line block ×3, first 2 shown]
	v_writelane_b32 v234, s0, 16
	v_writelane_b32 v234, s1, 17
	s_mov_b64 s[0:1], s[84:85]
	s_wait_loadcnt 0x5
	v_mul_f64_e32 v[25:26], s[54:55], v[3:4]
	v_mul_f64_e32 v[27:28], s[54:55], v[1:2]
	s_wait_loadcnt 0x4
	v_mul_f64_e32 v[29:30], s[58:59], v[7:8]
	s_delay_alu instid0(VALU_DEP_3) | instskip(SKIP_1) | instid1(VALU_DEP_4)
	v_fma_f64 v[1:2], v[1:2], s[52:53], v[25:26]
	v_mul_f64_e32 v[25:26], s[58:59], v[5:6]
	v_fma_f64 v[3:4], v[3:4], s[52:53], -v[27:28]
	s_wait_loadcnt 0x3
	v_mul_f64_e32 v[27:28], s[62:63], v[11:12]
	v_fma_f64 v[5:6], v[5:6], s[56:57], v[29:30]
	s_wait_loadcnt 0x1
	v_mul_f64_e32 v[29:30], s[38:39], v[15:16]
	v_fma_f64 v[7:8], v[7:8], s[56:57], -v[25:26]
	v_mul_f64_e32 v[25:26], s[62:63], v[9:10]
	v_fma_f64 v[9:10], v[9:10], s[60:61], v[27:28]
	s_wait_loadcnt 0x0
	v_mul_f64_e32 v[27:28], s[6:7], v[19:20]
	s_delay_alu instid0(VALU_DEP_3) | instskip(SKIP_3) | instid1(VALU_DEP_3)
	v_fma_f64 v[11:12], v[11:12], s[60:61], -v[25:26]
	v_mul_f64_e32 v[25:26], s[38:39], v[13:14]
	v_fma_f64 v[13:14], v[13:14], s[36:37], v[29:30]
	v_mul_f64_e32 v[29:30], s[66:67], v[23:24]
	v_fma_f64 v[15:16], v[15:16], s[36:37], -v[25:26]
	v_mul_f64_e32 v[25:26], s[6:7], v[17:18]
	v_fma_f64 v[17:18], v[17:18], s[4:5], v[27:28]
	v_mad_co_u64_u32 v[27:28], null, 0x50, s24, v[45:46]
	s_delay_alu instid0(VALU_DEP_1) | instskip(NEXT) | instid1(VALU_DEP_1)
	v_mad_co_u64_u32 v[31:32], null, 0x50, s25, v[28:29]
	v_mov_b32_e32 v28, v31
	v_fma_f64 v[19:20], v[19:20], s[4:5], -v[25:26]
	v_mul_f64_e32 v[25:26], s[66:67], v[21:22]
	v_fma_f64 v[21:22], v[21:22], s[64:65], v[29:30]
	s_delay_alu instid0(VALU_DEP_2) | instskip(SKIP_4) | instid1(VALU_DEP_2)
	v_fma_f64 v[23:24], v[23:24], s[64:65], -v[25:26]
	global_load_b128 v[25:28], v[27:28], off
	s_wait_loadcnt 0x0
	v_mul_f64_e32 v[29:30], s[42:43], v[27:28]
	v_mul_f64_e32 v[31:32], s[42:43], v[25:26]
	v_fma_f64 v[25:26], v[25:26], s[40:41], v[29:30]
	v_mad_co_u64_u32 v[29:30], null, 0x60, s24, v[45:46]
	s_delay_alu instid0(VALU_DEP_3) | instskip(NEXT) | instid1(VALU_DEP_2)
	v_fma_f64 v[27:28], v[27:28], s[40:41], -v[31:32]
	v_mad_co_u64_u32 v[30:31], null, 0x60, s25, v[30:31]
	global_load_b128 v[29:32], v[29:30], off
	s_wait_loadcnt 0x0
	v_mul_f64_e32 v[33:34], s[46:47], v[31:32]
	v_mul_f64_e32 v[35:36], s[46:47], v[29:30]
	s_delay_alu instid0(VALU_DEP_2) | instskip(SKIP_1) | instid1(VALU_DEP_3)
	v_fma_f64 v[29:30], v[29:30], s[44:45], v[33:34]
	v_mad_co_u64_u32 v[33:34], null, 0x70, s24, v[45:46]
	v_fma_f64 v[31:32], v[31:32], s[44:45], -v[35:36]
	s_delay_alu instid0(VALU_DEP_2) | instskip(SKIP_4) | instid1(VALU_DEP_2)
	v_mad_co_u64_u32 v[34:35], null, 0x70, s25, v[34:35]
	global_load_b128 v[33:36], v[33:34], off
	s_wait_loadcnt 0x0
	v_mul_f64_e32 v[37:38], s[50:51], v[35:36]
	v_mul_f64_e32 v[39:40], s[50:51], v[33:34]
	v_fma_f64 v[33:34], v[33:34], s[48:49], v[37:38]
	v_mad_co_u64_u32 v[37:38], null, 0x90, s24, v[45:46]
	s_delay_alu instid0(VALU_DEP_3) | instskip(NEXT) | instid1(VALU_DEP_2)
	v_fma_f64 v[35:36], v[35:36], s[48:49], -v[39:40]
	v_mad_co_u64_u32 v[38:39], null, 0x90, s25, v[38:39]
	global_load_b128 v[37:40], v[37:38], off
	s_wait_loadcnt 0x0
	v_mul_f64_e32 v[41:42], s[10:11], v[39:40]
	v_mul_f64_e32 v[43:44], s[10:11], v[37:38]
	s_delay_alu instid0(VALU_DEP_2) | instskip(SKIP_1) | instid1(VALU_DEP_3)
	v_fma_f64 v[37:38], v[37:38], s[8:9], v[41:42]
	v_mad_co_u64_u32 v[41:42], null, 0xa0, s24, v[45:46]
	v_fma_f64 v[39:40], v[39:40], s[8:9], -v[43:44]
	s_delay_alu instid0(VALU_DEP_2) | instskip(SKIP_4) | instid1(VALU_DEP_2)
	v_mad_co_u64_u32 v[42:43], null, 0xa0, s25, v[42:43]
	global_load_b128 v[41:44], v[41:42], off
	s_wait_loadcnt 0x0
	v_mul_f64_e32 v[49:50], s[14:15], v[43:44]
	v_mul_f64_e32 v[51:52], s[14:15], v[41:42]
	v_fma_f64 v[41:42], v[41:42], s[12:13], v[49:50]
	v_mad_co_u64_u32 v[49:50], null, 0xb0, s24, v[45:46]
	s_delay_alu instid0(VALU_DEP_3) | instskip(SKIP_1) | instid1(VALU_DEP_3)
	v_fma_f64 v[43:44], v[43:44], s[12:13], -v[51:52]
	v_mad_co_u64_u32 v[45:46], null, 0xc0, s24, v[45:46]
	v_mov_b32_e32 v47, v50
	s_delay_alu instid0(VALU_DEP_1) | instskip(NEXT) | instid1(VALU_DEP_3)
	v_mad_co_u64_u32 v[50:51], null, 0xb0, s25, v[47:48]
	v_mad_co_u64_u32 v[46:47], null, 0xc0, s25, v[46:47]
	s_mov_b32 s24, 0xebaa3ed8
	s_mov_b32 s25, 0x3fbedb7d
	global_load_b128 v[49:52], v[49:50], off
	s_wait_loadcnt 0x0
	v_mul_f64_e32 v[53:54], s[18:19], v[51:52]
	v_mul_f64_e32 v[55:56], s[18:19], v[49:50]
	s_delay_alu instid0(VALU_DEP_2) | instskip(NEXT) | instid1(VALU_DEP_2)
	v_fma_f64 v[49:50], v[49:50], s[16:17], v[53:54]
	v_fma_f64 v[51:52], v[51:52], s[16:17], -v[55:56]
	global_load_b128 v[53:56], v[45:46], off
	ds_store_b128 v117, v[1:4]
	ds_store_b128 v117, v[5:8] offset:16
	ds_store_b128 v117, v[9:12] offset:32
	;; [unrolled: 1-line block ×4, first 2 shown]
	s_load_b128 s[20:23], s[22:23], 0x0
	s_wait_loadcnt 0x0
	v_mul_f64_e32 v[45:46], s[70:71], v[55:56]
	v_mul_f64_e32 v[57:58], s[70:71], v[53:54]
	s_mov_b32 s71, 0x3fcea1e5
	s_mov_b32 s70, s82
	s_delay_alu instid0(VALU_DEP_2) | instskip(NEXT) | instid1(VALU_DEP_2)
	v_fma_f64 v[53:54], v[53:54], s[68:69], v[45:46]
	v_fma_f64 v[55:56], v[55:56], s[68:69], -v[57:58]
	s_mov_b32 s69, 0x3fedeba7
	s_mov_b32 s68, s74
	ds_store_b128 v117, v[21:24] offset:48
	ds_store_b128 v117, v[25:28] offset:80
	;; [unrolled: 1-line block ×8, first 2 shown]
	global_wb scope:SCOPE_SE
	s_wait_dscnt 0x0
	s_wait_kmcnt 0x0
	s_barrier_signal -1
	s_barrier_wait -1
	global_inv scope:SCOPE_SE
	ds_load_b128 v[0:3], v117
	ds_load_b128 v[4:7], v117 offset:16
	ds_load_b128 v[8:11], v117 offset:32
	;; [unrolled: 1-line block ×6, first 2 shown]
	s_wait_dscnt 0x5
	v_add_f64_e32 v[12:13], v[0:1], v[4:5]
	v_add_f64_e32 v[14:15], v[2:3], v[6:7]
	s_wait_dscnt 0x0
	v_add_f64_e64 v[24:25], v[20:21], -v[28:29]
	v_add_f64_e64 v[26:27], v[22:23], -v[30:31]
	s_delay_alu instid0(VALU_DEP_4) | instskip(NEXT) | instid1(VALU_DEP_4)
	v_add_f64_e32 v[12:13], v[12:13], v[8:9]
	v_add_f64_e32 v[14:15], v[14:15], v[10:11]
	s_delay_alu instid0(VALU_DEP_4) | instskip(NEXT) | instid1(VALU_DEP_4)
	v_mul_f64_e32 v[140:141], s[82:83], v[24:25]
	v_mul_f64_e32 v[138:139], s[82:83], v[26:27]
	v_mul_f64_e32 v[174:175], s[78:79], v[26:27]
	v_mul_f64_e32 v[176:177], s[78:79], v[24:25]
	v_mul_f64_e32 v[190:191], s[72:73], v[26:27]
	v_mul_f64_e32 v[192:193], s[72:73], v[24:25]
	v_mul_f64_e32 v[208:209], vcc, v[24:25]
	v_add_f64_e32 v[12:13], v[12:13], v[32:33]
	v_add_f64_e32 v[14:15], v[14:15], v[34:35]
	s_delay_alu instid0(VALU_DEP_2) | instskip(NEXT) | instid1(VALU_DEP_2)
	v_add_f64_e32 v[16:17], v[12:13], v[36:37]
	v_add_f64_e32 v[18:19], v[14:15], v[38:39]
	ds_load_b128 v[12:15], v117 offset:80
	s_wait_dscnt 0x0
	v_add_f64_e32 v[16:17], v[16:17], v[12:13]
	v_add_f64_e32 v[18:19], v[18:19], v[14:15]
	s_delay_alu instid0(VALU_DEP_2) | instskip(NEXT) | instid1(VALU_DEP_2)
	v_add_f64_e32 v[40:41], v[16:17], v[20:21]
	v_add_f64_e32 v[42:43], v[18:19], v[22:23]
	;; [unrolled: 1-line block ×4, first 2 shown]
	s_delay_alu instid0(VALU_DEP_4) | instskip(NEXT) | instid1(VALU_DEP_4)
	v_add_f64_e32 v[44:45], v[40:41], v[28:29]
	v_add_f64_e32 v[46:47], v[42:43], v[30:31]
	ds_load_b128 v[40:43], v117 offset:128
	s_wait_dscnt 0x0
	v_add_f64_e32 v[20:21], v[12:13], v[40:41]
	v_add_f64_e32 v[22:23], v[14:15], v[42:43]
	v_add_f64_e64 v[28:29], v[12:13], -v[40:41]
	v_add_f64_e64 v[30:31], v[14:15], -v[42:43]
	ds_load_b128 v[12:15], v117 offset:192
	v_add_f64_e32 v[40:41], v[44:45], v[40:41]
	v_add_f64_e32 v[42:43], v[46:47], v[42:43]
	s_wait_dscnt 0x0
	v_add_f64_e64 v[44:45], v[6:7], -v[14:15]
	v_add_f64_e64 v[46:47], v[4:5], -v[12:13]
	v_add_f64_e32 v[4:5], v[4:5], v[12:13]
	v_add_f64_e32 v[6:7], v[6:7], v[14:15]
	v_mul_f64_e32 v[136:137], s[78:79], v[28:29]
	v_mul_f64_e32 v[134:135], s[78:79], v[30:31]
	v_mul_f64_e32 v[154:155], vcc, v[30:31]
	v_mul_f64_e32 v[156:157], vcc, v[28:29]
	v_mul_f64_e32 v[170:171], s[76:77], v[30:31]
	v_mul_f64_e32 v[172:173], s[76:77], v[28:29]
	s_wait_alu 0xfffe
	v_mul_f64_e32 v[186:187], s[70:71], v[30:31]
	v_mul_f64_e32 v[188:189], s[70:71], v[28:29]
	;; [unrolled: 1-line block ×12, first 2 shown]
	v_fma_f64 v[59:60], v[4:5], s[34:35], -v[49:50]
	v_fma_f64 v[49:50], v[4:5], s[34:35], v[49:50]
	v_fma_f64 v[61:62], v[4:5], s[28:29], -v[51:52]
	v_fma_f64 v[51:52], v[4:5], s[28:29], v[51:52]
	;; [unrolled: 2-line block ×6, first 2 shown]
	v_mul_f64_e32 v[44:45], s[80:81], v[46:47]
	v_mul_f64_e32 v[46:47], s[82:83], v[46:47]
	v_fma_f64 v[81:82], v[6:7], s[28:29], v[71:72]
	v_fma_f64 v[71:72], v[6:7], s[28:29], -v[71:72]
	v_fma_f64 v[83:84], v[6:7], s[24:25], v[73:74]
	v_fma_f64 v[73:74], v[6:7], s[24:25], -v[73:74]
	;; [unrolled: 2-line block ×4, first 2 shown]
	s_mov_b32 s81, 0x3fddbe06
	s_wait_alu 0xfffe
	v_mul_f64_e32 v[158:159], s[80:81], v[26:27]
	v_mul_f64_e32 v[160:161], s[80:81], v[24:25]
	v_add_f64_e32 v[91:92], v[0:1], v[59:60]
	v_add_f64_e32 v[55:56], v[0:1], v[55:56]
	;; [unrolled: 1-line block ×5, first 2 shown]
	v_fma_f64 v[79:80], v[6:7], s[34:35], v[44:45]
	v_fma_f64 v[44:45], v[6:7], s[34:35], -v[44:45]
	v_fma_f64 v[89:90], v[6:7], s[26:27], v[46:47]
	v_fma_f64 v[6:7], v[6:7], s[26:27], -v[46:47]
	v_add_f64_e32 v[46:47], v[0:1], v[49:50]
	v_add_f64_e32 v[49:50], v[0:1], v[61:62]
	;; [unrolled: 1-line block ×19, first 2 shown]
	ds_load_b128 v[0:3], v117 offset:144
	ds_load_b128 v[4:7], v117 offset:160
	s_wait_dscnt 0x1
	v_add_f64_e32 v[93:94], v[36:37], v[0:1]
	v_add_f64_e32 v[95:96], v[38:39], v[2:3]
	v_add_f64_e64 v[97:98], v[36:37], -v[0:1]
	v_add_f64_e64 v[99:100], v[38:39], -v[2:3]
	v_add_f64_e32 v[101:102], v[40:41], v[0:1]
	v_add_f64_e32 v[103:104], v[42:43], v[2:3]
	ds_load_b128 v[0:3], v117 offset:176
	s_wait_dscnt 0x1
	v_add_f64_e64 v[120:121], v[34:35], -v[6:7]
	v_add_f64_e32 v[113:114], v[32:33], v[4:5]
	v_add_f64_e64 v[118:119], v[32:33], -v[4:5]
	v_add_f64_e32 v[115:116], v[34:35], v[6:7]
	s_wait_dscnt 0x0
	v_add_f64_e64 v[105:106], v[10:11], -v[2:3]
	v_add_f64_e64 v[107:108], v[8:9], -v[0:1]
	v_add_f64_e32 v[109:110], v[8:9], v[0:1]
	v_add_f64_e32 v[111:112], v[10:11], v[2:3]
	v_mul_f64_e32 v[132:133], s[74:75], v[97:98]
	v_mul_f64_e32 v[130:131], s[74:75], v[99:100]
	;; [unrolled: 1-line block ×20, first 2 shown]
	v_fma_f64 v[32:33], v[113:114], s[24:25], v[126:127]
	v_fma_f64 v[36:37], v[113:114], s[26:27], -v[146:147]
	v_fma_f64 v[8:9], v[109:110], s[28:29], v[122:123]
	v_fma_f64 v[10:11], v[111:112], s[28:29], -v[124:125]
	v_fma_f64 v[34:35], v[111:112], s[2:3], v[144:145]
	v_fma_f64 v[38:39], v[111:112], s[26:27], v[162:163]
	s_delay_alu instid0(VALU_DEP_4) | instskip(NEXT) | instid1(VALU_DEP_4)
	v_add_f64_e32 v[8:9], v[8:9], v[46:47]
	v_add_f64_e32 v[10:11], v[10:11], v[44:45]
	s_delay_alu instid0(VALU_DEP_4)
	v_add_f64_e32 v[34:35], v[34:35], v[59:60]
	v_mul_f64_e32 v[59:60], s[82:83], v[105:106]
	v_add_f64_e32 v[38:39], v[38:39], v[63:64]
	v_mul_f64_e32 v[63:64], s[68:69], v[120:121]
	v_add_f64_e32 v[8:9], v[32:33], v[8:9]
	v_fma_f64 v[32:33], v[115:116], s[24:25], -v[128:129]
	s_delay_alu instid0(VALU_DEP_3) | instskip(SKIP_1) | instid1(VALU_DEP_3)
	v_fma_f64 v[40:41], v[113:114], s[2:3], -v[63:64]
	v_fma_f64 v[63:64], v[113:114], s[2:3], v[63:64]
	v_add_f64_e32 v[10:11], v[32:33], v[10:11]
	v_fma_f64 v[32:33], v[93:94], s[2:3], v[130:131]
	s_delay_alu instid0(VALU_DEP_1) | instskip(SKIP_1) | instid1(VALU_DEP_1)
	v_add_f64_e32 v[8:9], v[32:33], v[8:9]
	v_fma_f64 v[32:33], v[95:96], s[2:3], -v[132:133]
	v_add_f64_e32 v[10:11], v[32:33], v[10:11]
	v_fma_f64 v[32:33], v[20:21], s[30:31], v[134:135]
	s_delay_alu instid0(VALU_DEP_1) | instskip(SKIP_1) | instid1(VALU_DEP_1)
	v_add_f64_e32 v[8:9], v[32:33], v[8:9]
	v_fma_f64 v[32:33], v[22:23], s[30:31], -v[136:137]
	;; [unrolled: 5-line block ×3, first 2 shown]
	v_add_f64_e32 v[10:11], v[32:33], v[10:11]
	v_fma_f64 v[32:33], v[109:110], s[2:3], -v[142:143]
	s_delay_alu instid0(VALU_DEP_1) | instskip(SKIP_2) | instid1(VALU_DEP_3)
	v_add_f64_e32 v[32:33], v[32:33], v[49:50]
	v_mul_f64_e32 v[49:50], vcc, v[105:106]
	v_mul_f64_e32 v[105:106], s[80:81], v[105:106]
	v_add_f64_e32 v[32:33], v[36:37], v[32:33]
	v_fma_f64 v[36:37], v[115:116], s[26:27], v[148:149]
	s_delay_alu instid0(VALU_DEP_1) | instskip(SKIP_1) | instid1(VALU_DEP_1)
	v_add_f64_e32 v[34:35], v[36:37], v[34:35]
	v_fma_f64 v[36:37], v[93:94], s[30:31], -v[150:151]
	v_add_f64_e32 v[32:33], v[36:37], v[32:33]
	v_fma_f64 v[36:37], v[95:96], s[30:31], v[152:153]
	s_delay_alu instid0(VALU_DEP_1) | instskip(SKIP_1) | instid1(VALU_DEP_1)
	v_add_f64_e32 v[34:35], v[36:37], v[34:35]
	v_fma_f64 v[36:37], v[20:21], s[24:25], -v[154:155]
	;; [unrolled: 5-line block ×4, first 2 shown]
	v_add_f64_e32 v[36:37], v[36:37], v[51:52]
	v_mul_f64_e32 v[51:52], vcc, v[107:108]
	s_delay_alu instid0(VALU_DEP_2) | instskip(SKIP_1) | instid1(VALU_DEP_3)
	v_add_f64_e32 v[36:37], v[40:41], v[36:37]
	v_fma_f64 v[40:41], v[115:116], s[2:3], v[164:165]
	v_fma_f64 v[46:47], v[111:112], s[24:25], v[51:52]
	v_fma_f64 v[51:52], v[111:112], s[24:25], -v[51:52]
	s_delay_alu instid0(VALU_DEP_3) | instskip(SKIP_1) | instid1(VALU_DEP_4)
	v_add_f64_e32 v[38:39], v[40:41], v[38:39]
	v_fma_f64 v[40:41], v[93:94], s[34:35], -v[166:167]
	v_add_f64_e32 v[46:47], v[46:47], v[83:84]
	s_delay_alu instid0(VALU_DEP_4) | instskip(NEXT) | instid1(VALU_DEP_3)
	v_add_f64_e32 v[51:52], v[51:52], v[77:78]
	v_add_f64_e32 v[36:37], v[40:41], v[36:37]
	v_fma_f64 v[40:41], v[95:96], s[34:35], v[168:169]
	s_delay_alu instid0(VALU_DEP_1) | instskip(SKIP_1) | instid1(VALU_DEP_1)
	v_add_f64_e32 v[38:39], v[40:41], v[38:39]
	v_fma_f64 v[40:41], v[20:21], s[28:29], -v[170:171]
	v_add_f64_e32 v[36:37], v[40:41], v[36:37]
	v_fma_f64 v[40:41], v[22:23], s[28:29], v[172:173]
	s_delay_alu instid0(VALU_DEP_1) | instskip(SKIP_1) | instid1(VALU_DEP_1)
	v_add_f64_e32 v[38:39], v[40:41], v[38:39]
	v_fma_f64 v[40:41], v[16:17], s[30:31], -v[174:175]
	v_add_f64_e32 v[36:37], v[40:41], v[36:37]
	v_fma_f64 v[40:41], v[18:19], s[30:31], v[176:177]
	s_delay_alu instid0(VALU_DEP_1)
	v_add_f64_e32 v[38:39], v[40:41], v[38:39]
	v_fma_f64 v[40:41], v[109:110], s[30:31], -v[178:179]
	ds_store_b128 v117, v[32:35] offset:32
	ds_store_b128 v117, v[36:39] offset:48
	v_add_f64_e32 v[40:41], v[40:41], v[53:54]
	v_mul_f64_e32 v[53:54], s[102:103], v[107:108]
	v_mul_f64_e32 v[107:108], s[80:81], v[107:108]
	s_delay_alu instid0(VALU_DEP_2) | instskip(SKIP_1) | instid1(VALU_DEP_2)
	v_fma_f64 v[42:43], v[111:112], s[30:31], v[53:54]
	v_fma_f64 v[53:54], v[111:112], s[30:31], -v[53:54]
	v_add_f64_e32 v[42:43], v[42:43], v[65:66]
	v_mul_f64_e32 v[65:66], s[80:81], v[120:121]
	s_delay_alu instid0(VALU_DEP_3) | instskip(NEXT) | instid1(VALU_DEP_2)
	v_add_f64_e32 v[53:54], v[53:54], v[75:76]
	v_fma_f64 v[44:45], v[113:114], s[34:35], -v[65:66]
	s_delay_alu instid0(VALU_DEP_1) | instskip(SKIP_1) | instid1(VALU_DEP_1)
	v_add_f64_e32 v[40:41], v[44:45], v[40:41]
	v_fma_f64 v[44:45], v[115:116], s[34:35], v[180:181]
	v_add_f64_e32 v[42:43], v[44:45], v[42:43]
	v_fma_f64 v[44:45], v[93:94], s[24:25], -v[182:183]
	s_delay_alu instid0(VALU_DEP_1) | instskip(SKIP_1) | instid1(VALU_DEP_1)
	v_add_f64_e32 v[40:41], v[44:45], v[40:41]
	v_fma_f64 v[44:45], v[95:96], s[24:25], v[184:185]
	;; [unrolled: 5-line block ×4, first 2 shown]
	v_add_f64_e32 v[42:43], v[44:45], v[42:43]
	v_fma_f64 v[44:45], v[109:110], s[24:25], -v[49:50]
	v_fma_f64 v[49:50], v[109:110], s[24:25], v[49:50]
	s_delay_alu instid0(VALU_DEP_2) | instskip(SKIP_1) | instid1(VALU_DEP_3)
	v_add_f64_e32 v[44:45], v[44:45], v[67:68]
	v_mul_f64_e32 v[67:68], s[76:77], v[120:121]
	v_add_f64_e32 v[49:50], v[49:50], v[57:58]
	v_mul_f64_e32 v[120:121], s[78:79], v[120:121]
	s_delay_alu instid0(VALU_DEP_3) | instskip(SKIP_1) | instid1(VALU_DEP_2)
	v_fma_f64 v[83:84], v[113:114], s[28:29], -v[67:68]
	v_fma_f64 v[57:58], v[113:114], s[28:29], v[67:68]
	v_add_f64_e32 v[44:45], v[83:84], v[44:45]
	v_mul_f64_e32 v[83:84], s[76:77], v[118:119]
	s_delay_alu instid0(VALU_DEP_3) | instskip(SKIP_1) | instid1(VALU_DEP_3)
	v_add_f64_e32 v[49:50], v[57:58], v[49:50]
	v_mul_f64_e32 v[118:119], s[78:79], v[118:119]
	v_fma_f64 v[194:195], v[115:116], s[28:29], v[83:84]
	v_fma_f64 v[57:58], v[115:116], s[28:29], -v[83:84]
	s_delay_alu instid0(VALU_DEP_2) | instskip(SKIP_1) | instid1(VALU_DEP_3)
	v_add_f64_e32 v[46:47], v[194:195], v[46:47]
	v_mul_f64_e32 v[194:195], s[70:71], v[99:100]
	v_add_f64_e32 v[51:52], v[57:58], v[51:52]
	v_mul_f64_e32 v[99:100], s[72:73], v[99:100]
	s_delay_alu instid0(VALU_DEP_3) | instskip(SKIP_1) | instid1(VALU_DEP_2)
	v_fma_f64 v[196:197], v[93:94], s[26:27], -v[194:195]
	v_fma_f64 v[57:58], v[93:94], s[26:27], v[194:195]
	v_add_f64_e32 v[44:45], v[196:197], v[44:45]
	v_mul_f64_e32 v[196:197], s[70:71], v[97:98]
	s_delay_alu instid0(VALU_DEP_3) | instskip(SKIP_1) | instid1(VALU_DEP_3)
	v_add_f64_e32 v[49:50], v[57:58], v[49:50]
	v_mul_f64_e32 v[97:98], s[72:73], v[97:98]
	v_fma_f64 v[198:199], v[95:96], s[26:27], v[196:197]
	v_fma_f64 v[57:58], v[95:96], s[26:27], -v[196:197]
	;; [unrolled: 15-line block ×3, first 2 shown]
	s_delay_alu instid0(VALU_DEP_2) | instskip(SKIP_1) | instid1(VALU_DEP_3)
	v_add_f64_e32 v[46:47], v[202:203], v[46:47]
	v_mul_f64_e32 v[202:203], s[74:75], v[26:27]
	v_add_f64_e32 v[51:52], v[57:58], v[51:52]
	s_delay_alu instid0(VALU_DEP_2) | instskip(SKIP_1) | instid1(VALU_DEP_2)
	v_fma_f64 v[57:58], v[16:17], s[2:3], v[202:203]
	v_fma_f64 v[204:205], v[16:17], s[2:3], -v[202:203]
	v_add_f64_e32 v[49:50], v[57:58], v[49:50]
	v_fma_f64 v[57:58], v[109:110], s[30:31], v[178:179]
	s_delay_alu instid0(VALU_DEP_3) | instskip(SKIP_1) | instid1(VALU_DEP_3)
	v_add_f64_e32 v[44:45], v[204:205], v[44:45]
	v_mul_f64_e32 v[204:205], s[74:75], v[24:25]
	v_add_f64_e32 v[55:56], v[57:58], v[55:56]
	v_fma_f64 v[57:58], v[113:114], s[34:35], v[65:66]
	v_fma_f64 v[65:66], v[18:19], s[28:29], -v[192:193]
	s_delay_alu instid0(VALU_DEP_4) | instskip(SKIP_1) | instid1(VALU_DEP_4)
	v_fma_f64 v[206:207], v[18:19], s[2:3], v[204:205]
	v_fma_f64 v[67:68], v[18:19], s[2:3], -v[204:205]
	v_add_f64_e32 v[55:56], v[57:58], v[55:56]
	v_fma_f64 v[57:58], v[115:116], s[34:35], -v[180:181]
	s_delay_alu instid0(VALU_DEP_4)
	v_add_f64_e32 v[46:47], v[206:207], v[46:47]
	v_fma_f64 v[206:207], v[109:110], s[34:35], -v[105:106]
	v_add_f64_e32 v[51:52], v[67:68], v[51:52]
	v_fma_f64 v[67:68], v[18:19], s[34:35], -v[160:161]
	v_add_f64_e32 v[53:54], v[57:58], v[53:54]
	v_fma_f64 v[57:58], v[93:94], s[24:25], v[182:183]
	v_add_f64_e32 v[69:70], v[206:207], v[69:70]
	v_fma_f64 v[206:207], v[111:112], s[34:35], v[107:108]
	s_delay_alu instid0(VALU_DEP_3) | instskip(SKIP_1) | instid1(VALU_DEP_3)
	v_add_f64_e32 v[55:56], v[57:58], v[55:56]
	v_fma_f64 v[57:58], v[95:96], s[24:25], -v[184:185]
	v_add_f64_e32 v[85:86], v[206:207], v[85:86]
	v_fma_f64 v[206:207], v[113:114], s[30:31], -v[120:121]
	s_delay_alu instid0(VALU_DEP_3) | instskip(SKIP_1) | instid1(VALU_DEP_3)
	v_add_f64_e32 v[53:54], v[57:58], v[53:54]
	v_fma_f64 v[57:58], v[20:21], s[26:27], v[186:187]
	v_add_f64_e32 v[69:70], v[206:207], v[69:70]
	v_fma_f64 v[206:207], v[115:116], s[30:31], v[118:119]
	s_delay_alu instid0(VALU_DEP_3) | instskip(SKIP_1) | instid1(VALU_DEP_3)
	v_add_f64_e32 v[55:56], v[57:58], v[55:56]
	v_fma_f64 v[57:58], v[22:23], s[26:27], -v[188:189]
	v_add_f64_e32 v[85:86], v[206:207], v[85:86]
	v_fma_f64 v[206:207], v[93:94], s[28:29], -v[99:100]
	s_delay_alu instid0(VALU_DEP_3) | instskip(SKIP_1) | instid1(VALU_DEP_3)
	v_add_f64_e32 v[57:58], v[57:58], v[53:54]
	v_fma_f64 v[53:54], v[16:17], s[28:29], v[190:191]
	v_add_f64_e32 v[69:70], v[206:207], v[69:70]
	v_fma_f64 v[206:207], v[95:96], s[28:29], v[97:98]
	s_delay_alu instid0(VALU_DEP_3)
	v_add_f64_e32 v[53:54], v[53:54], v[55:56]
	v_add_f64_e32 v[55:56], v[65:66], v[57:58]
	v_fma_f64 v[57:58], v[109:110], s[26:27], v[59:60]
	v_fma_f64 v[59:60], v[111:112], s[26:27], -v[162:163]
	v_add_f64_e32 v[85:86], v[206:207], v[85:86]
	v_fma_f64 v[206:207], v[20:21], s[2:3], -v[30:31]
	v_fma_f64 v[65:66], v[18:19], s[30:31], -v[176:177]
	v_fma_f64 v[30:31], v[20:21], s[2:3], v[30:31]
	v_add_f64_e32 v[57:58], v[57:58], v[81:82]
	v_add_f64_e32 v[59:60], v[59:60], v[73:74]
	;; [unrolled: 1-line block ×3, first 2 shown]
	v_fma_f64 v[206:207], v[22:23], s[2:3], v[28:29]
	v_fma_f64 v[28:29], v[22:23], s[2:3], -v[28:29]
	v_add_f64_e32 v[57:58], v[63:64], v[57:58]
	v_fma_f64 v[63:64], v[115:116], s[2:3], -v[164:165]
	s_delay_alu instid0(VALU_DEP_4) | instskip(SKIP_2) | instid1(VALU_DEP_4)
	v_add_f64_e32 v[85:86], v[206:207], v[85:86]
	v_mul_f64_e32 v[206:207], vcc, v[26:27]
	v_fma_f64 v[26:27], v[18:19], s[24:25], v[208:209]
	v_add_f64_e32 v[59:60], v[63:64], v[59:60]
	v_fma_f64 v[63:64], v[93:94], s[34:35], v[166:167]
	s_delay_alu instid0(VALU_DEP_4) | instskip(NEXT) | instid1(VALU_DEP_4)
	v_fma_f64 v[24:25], v[16:17], s[24:25], -v[206:207]
	v_add_f64_e32 v[26:27], v[26:27], v[85:86]
	v_fma_f64 v[85:86], v[111:112], s[34:35], -v[107:108]
	s_delay_alu instid0(VALU_DEP_4) | instskip(SKIP_4) | instid1(VALU_DEP_4)
	v_add_f64_e32 v[57:58], v[63:64], v[57:58]
	v_fma_f64 v[63:64], v[95:96], s[34:35], -v[168:169]
	v_add_f64_e32 v[24:25], v[24:25], v[69:70]
	v_fma_f64 v[69:70], v[109:110], s[34:35], v[105:106]
	v_add_f64_e32 v[85:86], v[85:86], v[89:90]
	v_add_f64_e32 v[59:60], v[63:64], v[59:60]
	v_fma_f64 v[63:64], v[20:21], s[28:29], v[170:171]
	s_delay_alu instid0(VALU_DEP_4) | instskip(SKIP_1) | instid1(VALU_DEP_3)
	v_add_f64_e32 v[69:70], v[69:70], v[87:88]
	v_fma_f64 v[87:88], v[113:114], s[30:31], v[120:121]
	v_add_f64_e32 v[57:58], v[63:64], v[57:58]
	v_fma_f64 v[63:64], v[22:23], s[28:29], -v[172:173]
	s_delay_alu instid0(VALU_DEP_3) | instskip(SKIP_1) | instid1(VALU_DEP_3)
	v_add_f64_e32 v[69:70], v[87:88], v[69:70]
	v_fma_f64 v[87:88], v[115:116], s[30:31], -v[118:119]
	v_add_f64_e32 v[59:60], v[63:64], v[59:60]
	v_fma_f64 v[63:64], v[16:17], s[30:31], v[174:175]
	s_delay_alu instid0(VALU_DEP_3) | instskip(SKIP_1) | instid1(VALU_DEP_4)
	v_add_f64_e32 v[85:86], v[87:88], v[85:86]
	v_fma_f64 v[87:88], v[93:94], s[28:29], v[99:100]
	v_add_f64_e32 v[59:60], v[65:66], v[59:60]
	s_delay_alu instid0(VALU_DEP_4)
	v_add_f64_e32 v[57:58], v[63:64], v[57:58]
	v_add_f64_e32 v[63:64], v[101:102], v[4:5]
	v_fma_f64 v[4:5], v[109:110], s[2:3], v[142:143]
	v_add_f64_e32 v[65:66], v[103:104], v[6:7]
	v_fma_f64 v[6:7], v[111:112], s[2:3], -v[144:145]
	v_add_f64_e32 v[69:70], v[87:88], v[69:70]
	v_fma_f64 v[87:88], v[95:96], s[28:29], -v[97:98]
	v_add_f64_e32 v[4:5], v[4:5], v[61:62]
	v_fma_f64 v[61:62], v[113:114], s[26:27], v[146:147]
	v_add_f64_e32 v[6:7], v[6:7], v[71:72]
	v_add_f64_e32 v[30:31], v[30:31], v[69:70]
	;; [unrolled: 1-line block ×3, first 2 shown]
	v_fma_f64 v[71:72], v[95:96], s[2:3], v[132:133]
	v_add_f64_e32 v[4:5], v[61:62], v[4:5]
	v_fma_f64 v[61:62], v[115:116], s[26:27], -v[148:149]
	s_delay_alu instid0(VALU_DEP_4)
	v_add_f64_e32 v[69:70], v[28:29], v[85:86]
	v_fma_f64 v[28:29], v[16:17], s[24:25], v[206:207]
	v_fma_f64 v[85:86], v[18:19], s[24:25], -v[208:209]
	v_fma_f64 v[18:19], v[18:19], s[26:27], v[140:141]
	v_add_f64_e32 v[6:7], v[61:62], v[6:7]
	v_fma_f64 v[61:62], v[93:94], s[30:31], v[150:151]
	v_add_f64_e32 v[28:29], v[28:29], v[30:31]
	v_add_f64_e32 v[30:31], v[85:86], v[69:70]
	v_fma_f64 v[69:70], v[93:94], s[2:3], -v[130:131]
	s_delay_alu instid0(VALU_DEP_4) | instskip(SKIP_1) | instid1(VALU_DEP_1)
	v_add_f64_e32 v[4:5], v[61:62], v[4:5]
	v_fma_f64 v[61:62], v[95:96], s[30:31], -v[152:153]
	v_add_f64_e32 v[6:7], v[61:62], v[6:7]
	v_fma_f64 v[61:62], v[20:21], s[24:25], v[154:155]
	v_fma_f64 v[20:21], v[20:21], s[30:31], -v[134:135]
	s_delay_alu instid0(VALU_DEP_2) | instskip(SKIP_2) | instid1(VALU_DEP_2)
	v_add_f64_e32 v[4:5], v[61:62], v[4:5]
	v_fma_f64 v[61:62], v[22:23], s[24:25], -v[156:157]
	v_fma_f64 v[22:23], v[22:23], s[30:31], v[136:137]
	v_add_f64_e32 v[6:7], v[61:62], v[6:7]
	v_fma_f64 v[61:62], v[16:17], s[34:35], v[158:159]
	v_fma_f64 v[16:17], v[16:17], s[26:27], -v[138:139]
	s_delay_alu instid0(VALU_DEP_3) | instskip(NEXT) | instid1(VALU_DEP_3)
	v_add_f64_e32 v[6:7], v[67:68], v[6:7]
	v_add_f64_e32 v[4:5], v[61:62], v[4:5]
	;; [unrolled: 1-line block ×4, first 2 shown]
	v_fma_f64 v[0:1], v[109:110], s[28:29], -v[122:123]
	v_fma_f64 v[2:3], v[111:112], s[28:29], v[124:125]
	v_fma_f64 v[65:66], v[113:114], s[24:25], -v[126:127]
	v_fma_f64 v[67:68], v[115:116], s[24:25], v[128:129]
	v_add_f64_e32 v[12:13], v[61:62], v[12:13]
	v_add_f64_e32 v[14:15], v[63:64], v[14:15]
	;; [unrolled: 1-line block ×4, first 2 shown]
	s_delay_alu instid0(VALU_DEP_2) | instskip(NEXT) | instid1(VALU_DEP_2)
	v_add_f64_e32 v[0:1], v[65:66], v[0:1]
	v_add_f64_e32 v[2:3], v[67:68], v[2:3]
	s_delay_alu instid0(VALU_DEP_2) | instskip(NEXT) | instid1(VALU_DEP_2)
	v_add_f64_e32 v[0:1], v[69:70], v[0:1]
	v_add_f64_e32 v[2:3], v[71:72], v[2:3]
	;; [unrolled: 3-line block ×4, first 2 shown]
	ds_store_b128 v117, v[40:43] offset:64
	ds_store_b128 v117, v[44:47] offset:80
	;; [unrolled: 1-line block ×10, first 2 shown]
	ds_store_b128 v117, v[12:15]
	global_wb scope:SCOPE_SE
	s_wait_dscnt 0x0
	s_barrier_signal -1
	s_barrier_wait -1
	global_inv scope:SCOPE_SE
	ds_load_b128 v[0:3], v117 offset:48
	ds_load_b128 v[4:7], v117 offset:64
	;; [unrolled: 1-line block ×4, first 2 shown]
	s_load_b512 s[84:99], s[84:85], 0x100
	s_wait_dscnt 0x3
	s_wait_kmcnt 0x0
	v_mul_f64_e32 v[16:17], s[86:87], v[2:3]
	v_mul_f64_e32 v[18:19], s[86:87], v[0:1]
	s_wait_dscnt 0x2
	v_mul_f64_e32 v[20:21], s[90:91], v[6:7]
	v_mul_f64_e32 v[22:23], s[90:91], v[4:5]
	s_wait_dscnt 0x1
	;; [unrolled: 3-line block ×3, first 2 shown]
	v_mul_f64_e32 v[28:29], s[98:99], v[14:15]
	v_mul_f64_e32 v[30:31], s[98:99], v[12:13]
	v_fma_f64 v[0:1], v[0:1], s[84:85], -v[16:17]
	v_fma_f64 v[2:3], v[2:3], s[84:85], v[18:19]
	v_fma_f64 v[4:5], v[4:5], s[88:89], -v[20:21]
	v_fma_f64 v[6:7], v[6:7], s[88:89], v[22:23]
	;; [unrolled: 2-line block ×4, first 2 shown]
	ds_load_b128 v[16:19], v117 offset:112
	ds_load_b128 v[20:23], v117 offset:128
	;; [unrolled: 1-line block ×4, first 2 shown]
	s_load_b512 s[84:99], s[0:1], 0x140
	s_wait_dscnt 0x3
	s_wait_kmcnt 0x0
	v_mul_f64_e32 v[32:33], s[86:87], v[18:19]
	v_mul_f64_e32 v[34:35], s[86:87], v[16:17]
	s_wait_dscnt 0x2
	v_mul_f64_e32 v[36:37], s[90:91], v[22:23]
	v_mul_f64_e32 v[38:39], s[90:91], v[20:21]
	s_wait_dscnt 0x1
	;; [unrolled: 3-line block ×3, first 2 shown]
	v_mul_f64_e32 v[44:45], s[98:99], v[30:31]
	v_mul_f64_e32 v[46:47], s[98:99], v[28:29]
	v_fma_f64 v[16:17], v[16:17], s[84:85], -v[32:33]
	v_fma_f64 v[18:19], v[18:19], s[84:85], v[34:35]
	v_fma_f64 v[20:21], v[20:21], s[88:89], -v[36:37]
	v_fma_f64 v[22:23], v[22:23], s[88:89], v[38:39]
	ds_load_b128 v[32:35], v117 offset:176
	ds_load_b128 v[36:39], v117 offset:192
	s_load_b256 s[84:91], s[0:1], 0x180
	v_fma_f64 v[24:25], v[24:25], s[92:93], -v[40:41]
	v_fma_f64 v[26:27], v[26:27], s[92:93], v[42:43]
	v_fma_f64 v[28:29], v[28:29], s[96:97], -v[44:45]
	v_fma_f64 v[30:31], v[30:31], s[96:97], v[46:47]
	s_mov_b32 s0, 0x4267c47c
	s_mov_b32 s1, 0xbfddbe06
	s_wait_dscnt 0x1
	s_wait_kmcnt 0x0
	v_mul_f64_e32 v[40:41], s[86:87], v[34:35]
	v_mul_f64_e32 v[42:43], s[86:87], v[32:33]
	s_wait_dscnt 0x0
	v_mul_f64_e32 v[44:45], s[90:91], v[38:39]
	v_mul_f64_e32 v[46:47], s[90:91], v[36:37]
	s_delay_alu instid0(VALU_DEP_4) | instskip(NEXT) | instid1(VALU_DEP_4)
	v_fma_f64 v[32:33], v[32:33], s[84:85], -v[40:41]
	v_fma_f64 v[34:35], v[34:35], s[84:85], v[42:43]
	ds_load_b128 v[40:43], v117
	v_fma_f64 v[36:37], v[36:37], s[88:89], -v[44:45]
	v_fma_f64 v[38:39], v[38:39], s[88:89], v[46:47]
	v_readlane_b32 s84, v234, 0
	v_readlane_b32 s90, v234, 6
	;; [unrolled: 1-line block ×16, first 2 shown]
	s_wait_dscnt 0x0
	s_wait_alu 0xf1ff
	v_mul_f64_e32 v[44:45], s[90:91], v[42:43]
	v_mul_f64_e32 v[49:50], s[90:91], v[40:41]
	s_delay_alu instid0(VALU_DEP_2)
	v_fma_f64 v[40:41], v[40:41], s[88:89], -v[44:45]
	ds_load_b128 v[44:47], v117 offset:16
	v_fma_f64 v[42:43], v[42:43], s[88:89], v[49:50]
	s_wait_dscnt 0x0
	v_mul_f64_e32 v[49:50], s[94:95], v[46:47]
	v_mul_f64_e32 v[51:52], s[94:95], v[44:45]
	s_delay_alu instid0(VALU_DEP_2) | instskip(NEXT) | instid1(VALU_DEP_2)
	v_fma_f64 v[44:45], v[44:45], s[92:93], -v[49:50]
	v_fma_f64 v[46:47], v[46:47], s[92:93], v[51:52]
	ds_load_b128 v[49:52], v117 offset:32
	s_wait_dscnt 0x0
	v_mul_f64_e32 v[53:54], s[98:99], v[51:52]
	v_mul_f64_e32 v[55:56], s[98:99], v[49:50]
	s_delay_alu instid0(VALU_DEP_2) | instskip(NEXT) | instid1(VALU_DEP_2)
	v_fma_f64 v[49:50], v[49:50], s[96:97], -v[53:54]
	v_fma_f64 v[51:52], v[51:52], s[96:97], v[55:56]
	ds_store_b128 v117, v[40:43]
	ds_store_b128 v117, v[44:47] offset:16
	ds_store_b128 v117, v[49:52] offset:32
	;; [unrolled: 1-line block ×12, first 2 shown]
	global_wb scope:SCOPE_SE
	s_wait_dscnt 0x0
	s_barrier_signal -1
	s_barrier_wait -1
	global_inv scope:SCOPE_SE
	ds_load_b128 v[0:3], v117 offset:16
	ds_load_b128 v[4:7], v117 offset:32
	;; [unrolled: 1-line block ×12, first 2 shown]
	ds_load_b128 v[118:121], v117
	s_wait_dscnt 0x7
	v_add_f64_e32 v[49:50], v[2:3], v[14:15]
	v_add_f64_e64 v[103:104], v[2:3], -v[14:15]
	s_wait_dscnt 0x6
	v_add_f64_e32 v[51:52], v[6:7], v[22:23]
	v_add_f64_e64 v[81:82], v[6:7], -v[22:23]
	v_add_f64_e64 v[97:98], v[0:1], -v[12:13]
	;; [unrolled: 1-line block ×3, first 2 shown]
	s_wait_dscnt 0x0
	v_add_f64_e32 v[210:211], v[118:119], v[0:1]
	v_add_f64_e32 v[2:3], v[120:121], v[2:3]
	;; [unrolled: 1-line block ×3, first 2 shown]
	v_add_f64_e64 v[59:60], v[8:9], -v[28:29]
	v_add_f64_e64 v[57:58], v[16:17], -v[32:33]
	v_add_f64_e32 v[214:215], v[16:17], v[32:33]
	v_add_f64_e32 v[216:217], v[8:9], v[28:29]
	;; [unrolled: 1-line block ×4, first 2 shown]
	v_add_f64_e64 v[55:56], v[24:25], -v[36:37]
	v_add_f64_e64 v[83:84], v[10:11], -v[30:31]
	v_add_f64_e32 v[212:213], v[24:25], v[36:37]
	v_add_f64_e64 v[53:54], v[44:45], -v[40:41]
	v_add_f64_e64 v[144:145], v[26:27], -v[38:39]
	;; [unrolled: 1-line block ×3, first 2 shown]
	v_add_f64_e32 v[79:80], v[26:27], v[38:39]
	v_add_f64_e32 v[85:86], v[46:47], v[42:43]
	v_mul_f64_e32 v[128:129], s[34:35], v[49:50]
	s_wait_alu 0xfffe
	v_mul_f64_e32 v[130:131], s[0:1], v[103:104]
	v_mul_f64_e32 v[109:110], s[26:27], v[49:50]
	;; [unrolled: 1-line block ×5, first 2 shown]
	v_add_f64_e32 v[210:211], v[210:211], v[4:5]
	v_add_f64_e32 v[2:3], v[2:3], v[6:7]
	v_mul_f64_e32 v[178:179], s[28:29], v[49:50]
	v_mul_f64_e32 v[180:181], s[28:29], v[51:52]
	;; [unrolled: 1-line block ×30, first 2 shown]
	v_fma_f64 v[132:133], v[97:98], s[0:1], v[128:129]
	v_mul_f64_e32 v[101:102], s[34:35], v[85:86]
	v_fma_f64 v[122:123], v[97:98], s[82:83], v[109:110]
	v_mul_f64_e32 v[184:185], s[28:29], v[67:68]
	v_fma_f64 v[166:167], v[97:98], s[78:79], v[146:147]
	v_add_f64_e32 v[6:7], v[210:211], v[8:9]
	v_add_f64_e32 v[2:3], v[2:3], v[10:11]
	v_mul_f64_e32 v[8:9], s[2:3], v[49:50]
	v_fma_f64 v[198:199], v[97:98], s[76:77], v[178:179]
	v_fma_f64 v[200:201], v[61:62], s[76:77], v[180:181]
	v_add_f64_e32 v[210:211], v[44:45], v[40:41]
	v_mul_f64_e32 v[10:11], s[2:3], v[51:52]
	v_fma_f64 v[93:94], v[59:60], s[82:83], v[91:92]
	v_fma_f64 v[95:96], v[61:62], s[82:83], v[89:90]
	;; [unrolled: 1-line block ×18, first 2 shown]
	v_readlane_b32 s0, v234, 16
	v_fma_f64 v[204:205], v[57:58], s[76:77], v[184:185]
	v_add_f64_e32 v[166:167], v[120:121], v[166:167]
	v_readlane_b32 s1, v234, 17
	v_add_f64_e32 v[6:7], v[6:7], v[16:17]
	v_add_f64_e32 v[2:3], v[2:3], v[18:19]
	v_mul_f64_e32 v[16:17], s[74:75], v[103:104]
	s_delay_alu instid0(VALU_DEP_3) | instskip(NEXT) | instid1(VALU_DEP_3)
	v_add_f64_e32 v[6:7], v[6:7], v[24:25]
	v_add_f64_e32 v[2:3], v[2:3], v[26:27]
	v_add_f64_e64 v[24:25], v[18:19], -v[34:35]
	v_fma_f64 v[18:19], v[97:98], s[74:75], v[8:9]
	v_fma_f64 v[8:9], v[97:98], s[68:69], v[8:9]
	v_mul_f64_e32 v[26:27], s[2:3], v[79:80]
	v_add_f64_e32 v[6:7], v[6:7], v[44:45]
	v_add_f64_e32 v[2:3], v[2:3], v[46:47]
	v_mul_f64_e32 v[220:221], s[74:75], v[24:25]
	v_mul_f64_e32 v[44:45], s[74:75], v[81:82]
	v_add_f64_e32 v[226:227], v[120:121], v[8:9]
	v_fma_f64 v[46:47], v[61:62], s[74:75], v[10:11]
	v_fma_f64 v[10:11], v[61:62], s[68:69], v[10:11]
	v_add_f64_e32 v[230:231], v[120:121], v[18:19]
	v_add_f64_e32 v[6:7], v[6:7], v[40:41]
	;; [unrolled: 1-line block ×3, first 2 shown]
	v_mul_f64_e32 v[40:41], s[2:3], v[63:64]
	v_mul_f64_e32 v[63:64], s[24:25], v[63:64]
	v_fma_f64 v[42:43], v[55:56], s[74:75], v[26:27]
	v_fma_f64 v[26:27], v[55:56], s[68:69], v[26:27]
	v_add_f64_e32 v[6:7], v[6:7], v[36:37]
	v_add_f64_e32 v[2:3], v[2:3], v[38:39]
	v_fma_f64 v[38:39], v[57:58], s[74:75], v[218:219]
	v_fma_f64 v[36:37], v[59:60], s[74:75], v[40:41]
	;; [unrolled: 1-line block ×3, first 2 shown]
	v_add_f64_e32 v[6:7], v[6:7], v[32:33]
	v_add_f64_e32 v[2:3], v[2:3], v[34:35]
	v_mul_f64_e32 v[34:35], s[74:75], v[77:78]
	v_mul_f64_e32 v[32:33], s[74:75], v[144:145]
	s_delay_alu instid0(VALU_DEP_4) | instskip(NEXT) | instid1(VALU_DEP_4)
	v_add_f64_e32 v[6:7], v[6:7], v[28:29]
	v_add_f64_e32 v[2:3], v[2:3], v[30:31]
	v_fma_f64 v[30:31], v[97:98], s[102:103], v[146:147]
	v_mul_f64_e32 v[28:29], s[2:3], v[85:86]
	s_delay_alu instid0(VALU_DEP_4) | instskip(NEXT) | instid1(VALU_DEP_4)
	v_add_f64_e32 v[4:5], v[6:7], v[20:21]
	v_add_f64_e32 v[2:3], v[2:3], v[22:23]
	;; [unrolled: 1-line block ×3, first 2 shown]
	v_fma_f64 v[20:21], v[97:98], s[72:73], v[178:179]
	v_add_f64_e32 v[30:31], v[120:121], v[30:31]
	v_fma_f64 v[222:223], v[53:54], s[74:75], v[28:29]
	v_fma_f64 v[28:29], v[53:54], s[68:69], v[28:29]
	v_add_f64_e32 v[0:1], v[4:5], v[12:13]
	v_add_f64_e32 v[2:3], v[2:3], v[14:15]
	v_mul_f64_e32 v[4:5], s[24:25], v[49:50]
	v_fma_f64 v[14:15], v[97:98], s[80:81], v[128:129]
	v_mul_f64_e32 v[49:50], s[100:101], v[103:104]
	v_fma_f64 v[103:104], v[6:7], s[34:35], -v[130:131]
	v_fma_f64 v[12:13], v[97:98], s[70:71], v[109:110]
	v_fma_f64 v[109:110], v[6:7], s[28:29], v[190:191]
	v_fma_f64 v[128:129], v[6:7], s[28:29], -v[190:191]
	v_fma_f64 v[146:147], v[6:7], s[2:3], v[16:17]
	v_fma_f64 v[16:17], v[6:7], s[2:3], -v[16:17]
	;; [unrolled: 2-line block ×3, first 2 shown]
	v_fma_f64 v[190:191], v[6:7], s[26:27], v[107:108]
	v_add_f64_e32 v[20:21], v[120:121], v[20:21]
	v_fma_f64 v[22:23], v[97:98], vcc, v[4:5]
	v_fma_f64 v[4:5], v[97:98], s[100:101], v[4:5]
	v_fma_f64 v[97:98], v[6:7], s[34:35], v[130:131]
	;; [unrolled: 1-line block ×3, first 2 shown]
	v_fma_f64 v[49:50], v[6:7], s[24:25], -v[49:50]
	v_fma_f64 v[6:7], v[6:7], s[26:27], -v[107:108]
	v_add_f64_e32 v[107:108], v[120:121], v[14:15]
	v_add_f64_e32 v[14:15], v[118:119], v[103:104]
	;; [unrolled: 1-line block ×13, first 2 shown]
	v_fma_f64 v[20:21], v[210:211], s[30:31], v[164:165]
	v_mul_f64_e32 v[16:17], s[24:25], v[67:68]
	v_mul_f64_e32 v[67:68], s[24:25], v[85:86]
	v_add_f64_e32 v[22:23], v[120:121], v[22:23]
	v_add_f64_e32 v[198:199], v[120:121], v[4:5]
	;; [unrolled: 1-line block ×6, first 2 shown]
	v_fma_f64 v[4:5], v[224:225], s[28:29], -v[192:193]
	v_add_f64_e32 v[120:121], v[120:121], v[122:123]
	v_add_f64_e32 v[6:7], v[200:201], v[103:104]
	v_mul_f64_e32 v[103:104], s[100:101], v[83:84]
	v_add_f64_e32 v[46:47], v[46:47], v[132:133]
	v_fma_f64 v[122:123], v[57:58], s[100:101], v[16:17]
	v_fma_f64 v[16:17], v[57:58], vcc, v[16:17]
	v_fma_f64 v[200:201], v[53:54], s[100:101], v[67:68]
	v_add_f64_e32 v[4:5], v[4:5], v[14:15]
	v_fma_f64 v[14:15], v[216:217], s[26:27], v[71:72]
	v_fma_f64 v[8:9], v[216:217], s[24:25], -v[103:104]
	v_add_f64_e32 v[46:47], v[93:94], v[46:47]
	s_delay_alu instid0(VALU_DEP_2) | instskip(SKIP_1) | instid1(VALU_DEP_1)
	v_add_f64_e32 v[4:5], v[8:9], v[4:5]
	v_fma_f64 v[8:9], v[59:60], s[100:101], v[63:64]
	v_add_f64_e32 v[6:7], v[8:9], v[6:7]
	v_fma_f64 v[8:9], v[214:215], s[2:3], -v[220:221]
	s_delay_alu instid0(VALU_DEP_2) | instskip(NEXT) | instid1(VALU_DEP_2)
	v_add_f64_e32 v[6:7], v[38:39], v[6:7]
	v_add_f64_e32 v[4:5], v[8:9], v[4:5]
	v_fma_f64 v[8:9], v[212:213], s[30:31], -v[162:163]
	v_mul_f64_e32 v[38:39], s[24:25], v[51:52]
	v_mul_f64_e32 v[51:52], s[24:25], v[79:80]
	;; [unrolled: 1-line block ×3, first 2 shown]
	v_add_f64_e32 v[6:7], v[174:175], v[6:7]
	v_add_f64_e32 v[4:5], v[8:9], v[4:5]
	v_fma_f64 v[8:9], v[210:211], s[26:27], -v[87:88]
	v_fma_f64 v[12:13], v[55:56], s[100:101], v[51:52]
	v_fma_f64 v[85:86], v[61:62], s[100:101], v[38:39]
	v_fma_f64 v[38:39], v[61:62], vcc, v[38:39]
	v_add_f64_e32 v[6:7], v[126:127], v[6:7]
	v_mul_f64_e32 v[126:127], s[80:81], v[77:78]
	v_add_f64_e32 v[4:5], v[8:9], v[4:5]
	v_fma_f64 v[8:9], v[224:225], s[2:3], v[44:45]
	v_fma_f64 v[44:45], v[224:225], s[2:3], -v[44:45]
	v_add_f64_e32 v[38:39], v[38:39], v[166:167]
	s_delay_alu instid0(VALU_DEP_3) | instskip(SKIP_1) | instid1(VALU_DEP_3)
	v_add_f64_e32 v[8:9], v[8:9], v[109:110]
	v_mul_f64_e32 v[109:110], vcc, v[144:145]
	v_add_f64_e32 v[38:39], v[202:203], v[38:39]
	v_add_f64_e32 v[44:45], v[44:45], v[128:129]
	s_delay_alu instid0(VALU_DEP_4) | instskip(SKIP_2) | instid1(VALU_DEP_2)
	v_add_f64_e32 v[8:9], v[14:15], v[8:9]
	v_fma_f64 v[14:15], v[59:60], s[70:71], v[91:92]
	v_mul_f64_e32 v[91:92], s[102:103], v[24:25]
	v_add_f64_e32 v[10:11], v[14:15], v[10:11]
	s_delay_alu instid0(VALU_DEP_2) | instskip(NEXT) | instid1(VALU_DEP_2)
	v_fma_f64 v[14:15], v[214:215], s[30:31], v[91:92]
	v_add_f64_e32 v[10:11], v[172:173], v[10:11]
	s_delay_alu instid0(VALU_DEP_2) | instskip(SKIP_1) | instid1(VALU_DEP_3)
	v_add_f64_e32 v[8:9], v[14:15], v[8:9]
	v_fma_f64 v[14:15], v[212:213], s[24:25], v[109:110]
	v_add_f64_e32 v[10:11], v[12:13], v[10:11]
	v_fma_f64 v[12:13], v[210:211], s[34:35], v[126:127]
	s_delay_alu instid0(VALU_DEP_3)
	v_add_f64_e32 v[8:9], v[14:15], v[8:9]
	v_fma_f64 v[14:15], v[61:62], s[70:71], v[89:90]
	v_mul_f64_e32 v[89:90], s[68:69], v[83:84]
	v_mul_f64_e32 v[83:84], s[80:81], v[83:84]
	v_add_f64_e32 v[10:11], v[142:143], v[10:11]
	v_add_f64_e32 v[8:9], v[12:13], v[8:9]
	v_fma_f64 v[12:13], v[224:225], s[26:27], v[73:74]
	v_fma_f64 v[18:19], v[216:217], s[2:3], v[89:90]
	v_add_f64_e32 v[14:15], v[14:15], v[22:23]
	v_fma_f64 v[22:23], v[216:217], s[34:35], v[83:84]
	s_delay_alu instid0(VALU_DEP_4) | instskip(SKIP_1) | instid1(VALU_DEP_4)
	v_add_f64_e32 v[12:13], v[12:13], v[130:131]
	v_mul_f64_e32 v[130:131], s[80:81], v[24:25]
	v_add_f64_e32 v[14:15], v[36:37], v[14:15]
	v_mul_f64_e32 v[36:37], s[102:103], v[81:82]
	s_delay_alu instid0(VALU_DEP_4) | instskip(NEXT) | instid1(VALU_DEP_4)
	v_add_f64_e32 v[12:13], v[18:19], v[12:13]
	v_fma_f64 v[18:19], v[214:215], s[34:35], v[130:131]
	s_delay_alu instid0(VALU_DEP_4) | instskip(SKIP_1) | instid1(VALU_DEP_3)
	v_add_f64_e32 v[14:15], v[138:139], v[14:15]
	v_mul_f64_e32 v[138:139], vcc, v[81:82]
	v_add_f64_e32 v[12:13], v[18:19], v[12:13]
	v_fma_f64 v[18:19], v[212:213], s[28:29], v[196:197]
	s_delay_alu instid0(VALU_DEP_1) | instskip(SKIP_1) | instid1(VALU_DEP_2)
	v_add_f64_e32 v[12:13], v[18:19], v[12:13]
	v_fma_f64 v[18:19], v[55:56], s[72:73], v[186:187]
	v_add_f64_e32 v[12:13], v[20:21], v[12:13]
	s_delay_alu instid0(VALU_DEP_2) | instskip(SKIP_2) | instid1(VALU_DEP_2)
	v_add_f64_e32 v[14:15], v[18:19], v[14:15]
	v_fma_f64 v[18:19], v[53:54], s[102:103], v[156:157]
	v_add_f64_e32 v[20:21], v[168:169], v[226:227]
	v_add_f64_e32 v[14:15], v[18:19], v[14:15]
	v_fma_f64 v[18:19], v[224:225], s[30:31], v[36:37]
	s_delay_alu instid0(VALU_DEP_3) | instskip(SKIP_2) | instid1(VALU_DEP_4)
	v_add_f64_e32 v[20:21], v[136:137], v[20:21]
	v_mul_f64_e32 v[136:137], s[70:71], v[144:145]
	v_fma_f64 v[36:37], v[224:225], s[30:31], -v[36:37]
	v_add_f64_e32 v[18:19], v[18:19], v[146:147]
	s_delay_alu instid0(VALU_DEP_4) | instskip(NEXT) | instid1(VALU_DEP_4)
	v_add_f64_e32 v[16:17], v[16:17], v[20:21]
	v_fma_f64 v[20:21], v[212:213], s[26:27], v[136:137]
	s_delay_alu instid0(VALU_DEP_4) | instskip(NEXT) | instid1(VALU_DEP_4)
	v_add_f64_e32 v[36:37], v[36:37], v[228:229]
	v_add_f64_e32 v[18:19], v[22:23], v[18:19]
	v_fma_f64 v[22:23], v[214:215], s[24:25], v[79:80]
	s_delay_alu instid0(VALU_DEP_1) | instskip(SKIP_3) | instid1(VALU_DEP_4)
	v_add_f64_e32 v[18:19], v[22:23], v[18:19]
	v_add_f64_e32 v[22:23], v[85:86], v[30:31]
	v_fma_f64 v[30:31], v[216:217], s[28:29], v[194:195]
	v_mul_f64_e32 v[85:86], s[70:71], v[24:25]
	v_add_f64_e32 v[18:19], v[20:21], v[18:19]
	v_add_f64_e32 v[20:21], v[124:125], v[16:17]
	v_mul_f64_e32 v[124:125], s[72:73], v[77:78]
	s_delay_alu instid0(VALU_DEP_1) | instskip(NEXT) | instid1(VALU_DEP_1)
	v_fma_f64 v[16:17], v[210:211], s[28:29], v[124:125]
	v_add_f64_e32 v[16:17], v[16:17], v[18:19]
	s_delay_alu instid0(VALU_DEP_4) | instskip(SKIP_1) | instid1(VALU_DEP_1)
	v_add_f64_e32 v[18:19], v[208:209], v[20:21]
	v_fma_f64 v[20:21], v[224:225], s[24:25], v[138:139]
	v_add_f64_e32 v[20:21], v[20:21], v[178:179]
	s_delay_alu instid0(VALU_DEP_1) | instskip(SKIP_1) | instid1(VALU_DEP_1)
	v_add_f64_e32 v[20:21], v[30:31], v[20:21]
	v_fma_f64 v[30:31], v[59:60], s[72:73], v[182:183]
	v_add_f64_e32 v[22:23], v[30:31], v[22:23]
	v_fma_f64 v[30:31], v[214:215], s[26:27], v[85:86]
	s_delay_alu instid0(VALU_DEP_2) | instskip(SKIP_1) | instid1(VALU_DEP_3)
	v_add_f64_e32 v[22:23], v[115:116], v[22:23]
	v_mul_f64_e32 v[115:116], s[80:81], v[144:145]
	v_add_f64_e32 v[20:21], v[30:31], v[20:21]
	s_delay_alu instid0(VALU_DEP_3) | instskip(NEXT) | instid1(VALU_DEP_3)
	v_add_f64_e32 v[22:23], v[140:141], v[22:23]
	v_fma_f64 v[30:31], v[212:213], s[34:35], v[115:116]
	s_delay_alu instid0(VALU_DEP_2) | instskip(NEXT) | instid1(VALU_DEP_2)
	v_add_f64_e32 v[22:23], v[28:29], v[22:23]
	v_add_f64_e32 v[20:21], v[30:31], v[20:21]
	v_fma_f64 v[30:31], v[210:211], s[2:3], v[34:35]
	v_mul_f64_e32 v[28:29], s[80:81], v[81:82]
	v_add_f64_e32 v[81:82], v[134:135], v[232:233]
	v_fma_f64 v[134:135], v[216:217], s[30:31], v[160:161]
	v_fma_f64 v[34:35], v[210:211], s[2:3], -v[34:35]
	v_add_f64_e32 v[20:21], v[30:31], v[20:21]
	v_fma_f64 v[30:31], v[224:225], s[34:35], v[28:29]
	v_fma_f64 v[28:29], v[224:225], s[34:35], -v[28:29]
	s_delay_alu instid0(VALU_DEP_2) | instskip(NEXT) | instid1(VALU_DEP_2)
	v_add_f64_e32 v[30:31], v[30:31], v[190:191]
	v_add_f64_e32 v[28:29], v[28:29], v[118:119]
	s_delay_alu instid0(VALU_DEP_2) | instskip(SKIP_1) | instid1(VALU_DEP_1)
	v_add_f64_e32 v[30:31], v[134:135], v[30:31]
	v_fma_f64 v[134:135], v[59:60], s[102:103], v[150:151]
	v_add_f64_e32 v[81:82], v[134:135], v[81:82]
	v_mul_f64_e32 v[134:135], s[72:73], v[24:25]
	s_delay_alu instid0(VALU_DEP_1) | instskip(NEXT) | instid1(VALU_DEP_1)
	v_fma_f64 v[24:25], v[214:215], s[28:29], v[134:135]
	v_add_f64_e32 v[24:25], v[24:25], v[30:31]
	s_delay_alu instid0(VALU_DEP_4) | instskip(SKIP_2) | instid1(VALU_DEP_3)
	v_add_f64_e32 v[30:31], v[204:205], v[81:82]
	v_fma_f64 v[81:82], v[212:213], s[2:3], v[32:33]
	v_fma_f64 v[32:33], v[212:213], s[2:3], -v[32:33]
	v_add_f64_e32 v[26:27], v[26:27], v[30:31]
	v_mul_f64_e32 v[30:31], vcc, v[77:78]
	s_delay_alu instid0(VALU_DEP_4) | instskip(SKIP_1) | instid1(VALU_DEP_4)
	v_add_f64_e32 v[24:25], v[81:82], v[24:25]
	v_fma_f64 v[81:82], v[216:217], s[30:31], -v[160:161]
	v_add_f64_e32 v[26:27], v[200:201], v[26:27]
	s_delay_alu instid0(VALU_DEP_4) | instskip(SKIP_1) | instid1(VALU_DEP_4)
	v_fma_f64 v[77:78], v[210:211], s[24:25], v[30:31]
	v_fma_f64 v[30:31], v[210:211], s[24:25], -v[30:31]
	v_add_f64_e32 v[28:29], v[81:82], v[28:29]
	v_fma_f64 v[81:82], v[214:215], s[28:29], -v[134:135]
	s_delay_alu instid0(VALU_DEP_4) | instskip(SKIP_1) | instid1(VALU_DEP_3)
	v_add_f64_e32 v[24:25], v[77:78], v[24:25]
	v_fma_f64 v[77:78], v[61:62], s[80:81], v[113:114]
	v_add_f64_e32 v[28:29], v[81:82], v[28:29]
	v_fma_f64 v[81:82], v[57:58], s[72:73], v[184:185]
	s_delay_alu instid0(VALU_DEP_3) | instskip(NEXT) | instid1(VALU_DEP_3)
	v_add_f64_e32 v[77:78], v[77:78], v[120:121]
	v_add_f64_e32 v[28:29], v[32:33], v[28:29]
	s_delay_alu instid0(VALU_DEP_2) | instskip(NEXT) | instid1(VALU_DEP_2)
	v_add_f64_e32 v[77:78], v[170:171], v[77:78]
	v_add_f64_e32 v[28:29], v[30:31], v[28:29]
	s_delay_alu instid0(VALU_DEP_2) | instskip(NEXT) | instid1(VALU_DEP_1)
	v_add_f64_e32 v[77:78], v[81:82], v[77:78]
	v_add_f64_e32 v[32:33], v[42:43], v[77:78]
	v_fma_f64 v[42:43], v[53:54], vcc, v[67:68]
	v_fma_f64 v[67:68], v[53:54], s[72:73], v[188:189]
	s_delay_alu instid0(VALU_DEP_2) | instskip(SKIP_2) | instid1(VALU_DEP_2)
	v_add_f64_e32 v[30:31], v[42:43], v[32:33]
	v_fma_f64 v[32:33], v[224:225], s[24:25], -v[138:139]
	v_fma_f64 v[42:43], v[216:217], s[28:29], -v[194:195]
	v_add_f64_e32 v[32:33], v[32:33], v[158:159]
	s_delay_alu instid0(VALU_DEP_1) | instskip(SKIP_1) | instid1(VALU_DEP_1)
	v_add_f64_e32 v[32:33], v[42:43], v[32:33]
	v_fma_f64 v[42:43], v[214:215], s[26:27], -v[85:86]
	v_add_f64_e32 v[32:33], v[42:43], v[32:33]
	v_fma_f64 v[42:43], v[57:58], s[70:71], v[75:76]
	s_delay_alu instid0(VALU_DEP_1) | instskip(SKIP_1) | instid1(VALU_DEP_1)
	v_add_f64_e32 v[38:39], v[42:43], v[38:39]
	v_fma_f64 v[42:43], v[212:213], s[34:35], -v[115:116]
	v_add_f64_e32 v[32:33], v[42:43], v[32:33]
	v_fma_f64 v[42:43], v[55:56], s[80:81], v[111:112]
	s_delay_alu instid0(VALU_DEP_2) | instskip(NEXT) | instid1(VALU_DEP_2)
	v_add_f64_e32 v[32:33], v[34:35], v[32:33]
	v_add_f64_e32 v[38:39], v[42:43], v[38:39]
	v_fma_f64 v[42:43], v[216:217], s[34:35], -v[83:84]
	s_delay_alu instid0(VALU_DEP_2) | instskip(SKIP_1) | instid1(VALU_DEP_3)
	v_add_f64_e32 v[34:35], v[222:223], v[38:39]
	v_fma_f64 v[38:39], v[61:62], s[102:103], v[148:149]
	v_add_f64_e32 v[36:37], v[42:43], v[36:37]
	v_fma_f64 v[42:43], v[59:60], s[80:81], v[105:106]
	v_fma_f64 v[59:60], v[59:60], vcc, v[63:64]
	v_fma_f64 v[63:64], v[214:215], s[2:3], v[220:221]
	v_add_f64_e32 v[38:39], v[38:39], v[230:231]
	s_delay_alu instid0(VALU_DEP_1) | instskip(SKIP_1) | instid1(VALU_DEP_2)
	v_add_f64_e32 v[38:39], v[42:43], v[38:39]
	v_fma_f64 v[42:43], v[214:215], s[24:25], -v[79:80]
	v_add_f64_e32 v[38:39], v[122:123], v[38:39]
	s_delay_alu instid0(VALU_DEP_2) | instskip(SKIP_1) | instid1(VALU_DEP_1)
	v_add_f64_e32 v[36:37], v[42:43], v[36:37]
	v_fma_f64 v[42:43], v[212:213], s[26:27], -v[136:137]
	v_add_f64_e32 v[36:37], v[42:43], v[36:37]
	v_fma_f64 v[42:43], v[55:56], s[70:71], v[69:70]
	s_delay_alu instid0(VALU_DEP_1) | instskip(SKIP_1) | instid1(VALU_DEP_2)
	v_add_f64_e32 v[38:39], v[42:43], v[38:39]
	v_fma_f64 v[42:43], v[210:211], s[28:29], -v[124:125]
	v_add_f64_e32 v[38:39], v[67:68], v[38:39]
	s_delay_alu instid0(VALU_DEP_2)
	v_add_f64_e32 v[36:37], v[42:43], v[36:37]
	v_fma_f64 v[42:43], v[224:225], s[26:27], -v[73:74]
	v_fma_f64 v[67:68], v[216:217], s[2:3], -v[89:90]
	s_load_b64 s[2:3], s[0:1], 0x38
	s_mov_b32 s0, 0x13b13b14
	s_mov_b32 s1, 0x3fb3b13b
	s_delay_alu instid0(VALU_DEP_2) | instskip(SKIP_1) | instid1(VALU_DEP_2)
	v_add_f64_e32 v[42:43], v[42:43], v[49:50]
	v_add_f64_e32 v[49:50], v[95:96], v[198:199]
	;; [unrolled: 1-line block ×3, first 2 shown]
	s_delay_alu instid0(VALU_DEP_2) | instskip(SKIP_1) | instid1(VALU_DEP_1)
	v_add_f64_e32 v[40:41], v[40:41], v[49:50]
	v_fma_f64 v[49:50], v[214:215], s[34:35], -v[130:131]
	v_add_f64_e32 v[42:43], v[49:50], v[42:43]
	v_fma_f64 v[49:50], v[57:58], s[80:81], v[99:100]
	s_delay_alu instid0(VALU_DEP_1) | instskip(SKIP_1) | instid1(VALU_DEP_1)
	v_add_f64_e32 v[40:41], v[49:50], v[40:41]
	v_fma_f64 v[49:50], v[212:213], s[28:29], -v[196:197]
	v_add_f64_e32 v[42:43], v[49:50], v[42:43]
	s_delay_alu instid0(VALU_DEP_3) | instskip(SKIP_1) | instid1(VALU_DEP_1)
	v_add_f64_e32 v[49:50], v[206:207], v[40:41]
	v_fma_f64 v[40:41], v[210:211], s[30:31], -v[164:165]
	v_add_f64_e32 v[40:41], v[40:41], v[42:43]
	s_delay_alu instid0(VALU_DEP_3) | instskip(SKIP_1) | instid1(VALU_DEP_1)
	v_add_f64_e32 v[42:43], v[176:177], v[49:50]
	v_fma_f64 v[49:50], v[216:217], s[26:27], -v[71:72]
	v_add_f64_e32 v[44:45], v[49:50], v[44:45]
	v_fma_f64 v[49:50], v[214:215], s[30:31], -v[91:92]
	s_delay_alu instid0(VALU_DEP_1) | instskip(SKIP_2) | instid1(VALU_DEP_2)
	v_add_f64_e32 v[44:45], v[49:50], v[44:45]
	v_fma_f64 v[49:50], v[57:58], s[102:103], v[152:153]
	v_fma_f64 v[57:58], v[57:58], s[68:69], v[218:219]
	v_add_f64_e32 v[46:47], v[49:50], v[46:47]
	v_fma_f64 v[49:50], v[212:213], s[24:25], -v[109:110]
	s_delay_alu instid0(VALU_DEP_1) | instskip(SKIP_4) | instid1(VALU_DEP_4)
	v_add_f64_e32 v[44:45], v[49:50], v[44:45]
	v_fma_f64 v[49:50], v[55:56], vcc, v[51:52]
	v_fma_f64 v[51:52], v[53:54], s[80:81], v[101:102]
	v_fma_f64 v[55:56], v[55:56], s[102:103], v[154:155]
	;; [unrolled: 1-line block ×3, first 2 shown]
	v_add_f64_e32 v[46:47], v[49:50], v[46:47]
	v_fma_f64 v[49:50], v[210:211], s[34:35], -v[126:127]
	s_delay_alu instid0(VALU_DEP_2) | instskip(NEXT) | instid1(VALU_DEP_2)
	v_add_f64_e32 v[46:47], v[51:52], v[46:47]
	v_add_f64_e32 v[44:45], v[49:50], v[44:45]
	v_fma_f64 v[49:50], v[224:225], s[28:29], v[192:193]
	v_fma_f64 v[51:52], v[61:62], s[72:73], v[180:181]
	;; [unrolled: 1-line block ×3, first 2 shown]
	s_delay_alu instid0(VALU_DEP_3) | instskip(NEXT) | instid1(VALU_DEP_3)
	v_add_f64_e32 v[49:50], v[49:50], v[97:98]
	v_add_f64_e32 v[51:52], v[51:52], v[107:108]
	s_delay_alu instid0(VALU_DEP_2) | instskip(NEXT) | instid1(VALU_DEP_2)
	v_add_f64_e32 v[49:50], v[61:62], v[49:50]
	v_add_f64_e32 v[51:52], v[59:60], v[51:52]
	v_fma_f64 v[59:60], v[212:213], s[30:31], v[162:163]
	s_delay_alu instid0(VALU_DEP_3) | instskip(NEXT) | instid1(VALU_DEP_3)
	v_add_f64_e32 v[49:50], v[63:64], v[49:50]
	v_add_f64_e32 v[51:52], v[57:58], v[51:52]
	v_fma_f64 v[57:58], v[210:211], s[26:27], v[87:88]
	s_delay_alu instid0(VALU_DEP_3) | instskip(NEXT) | instid1(VALU_DEP_3)
	v_add_f64_e32 v[49:50], v[59:60], v[49:50]
	v_add_f64_e32 v[51:52], v[55:56], v[51:52]
	s_delay_alu instid0(VALU_DEP_2) | instskip(NEXT) | instid1(VALU_DEP_2)
	v_add_f64_e32 v[49:50], v[57:58], v[49:50]
	v_add_f64_e32 v[51:52], v[53:54], v[51:52]
	ds_store_b128 v117, v[8:11] offset:32
	ds_store_b128 v117, v[12:15] offset:48
	;; [unrolled: 1-line block ×12, first 2 shown]
	ds_store_b128 v117, v[0:3]
	global_wb scope:SCOPE_SE
	s_wait_dscnt 0x0
	s_wait_kmcnt 0x0
	s_barrier_signal -1
	s_barrier_wait -1
	global_inv scope:SCOPE_SE
	ds_load_b128 v[0:3], v117
	ds_load_b128 v[4:7], v117 offset:16
	ds_load_b128 v[8:11], v117 offset:32
	;; [unrolled: 1-line block ×4, first 2 shown]
	s_wait_dscnt 0x4
	v_mul_f64_e32 v[20:21], s[54:55], v[2:3]
	v_mul_f64_e32 v[22:23], s[54:55], v[0:1]
	s_wait_dscnt 0x3
	v_mul_f64_e32 v[24:25], s[58:59], v[6:7]
	v_mul_f64_e32 v[26:27], s[58:59], v[4:5]
	;; [unrolled: 3-line block ×3, first 2 shown]
	s_wait_dscnt 0x1
	v_mul_f64_e32 v[32:33], s[66:67], v[14:15]
	v_fma_f64 v[0:1], s[52:53], v[0:1], v[20:21]
	v_fma_f64 v[2:3], s[52:53], v[2:3], -v[22:23]
	v_mul_f64_e32 v[20:21], s[66:67], v[12:13]
	s_wait_dscnt 0x0
	v_mul_f64_e32 v[22:23], s[38:39], v[18:19]
	v_fma_f64 v[4:5], s[56:57], v[4:5], v[24:25]
	v_mul_f64_e32 v[24:25], s[38:39], v[16:17]
	v_fma_f64 v[6:7], s[56:57], v[6:7], -v[26:27]
	v_fma_f64 v[8:9], s[60:61], v[8:9], v[28:29]
	v_fma_f64 v[10:11], s[60:61], v[10:11], -v[30:31]
	v_fma_f64 v[12:13], s[64:65], v[12:13], v[32:33]
	v_mad_co_u64_u32 v[26:27], null, s22, v48, 0
	s_wait_alu 0xfffe
	v_mul_f64_e32 v[0:1], s[0:1], v[0:1]
	v_mul_f64_e32 v[2:3], s[0:1], v[2:3]
	v_fma_f64 v[14:15], s[64:65], v[14:15], -v[20:21]
	v_fma_f64 v[21:22], s[36:37], v[16:17], v[22:23]
	v_mov_b32_e32 v20, v27
	v_fma_f64 v[23:24], s[36:37], v[18:19], -v[24:25]
	v_mul_f64_e32 v[4:5], s[0:1], v[4:5]
	v_mul_f64_e32 v[6:7], s[0:1], v[6:7]
	;; [unrolled: 1-line block ×6, first 2 shown]
	v_mad_co_u64_u32 v[16:17], null, s23, v48, v[20:21]
	v_mul_f64_e32 v[20:21], s[0:1], v[21:22]
	v_mul_f64_e32 v[22:23], s[0:1], v[23:24]
	s_lshl_b64 s[22:23], s[20:21], 5
	s_delay_alu instid0(VALU_DEP_3) | instskip(NEXT) | instid1(VALU_DEP_1)
	v_mov_b32_e32 v27, v16
	v_lshlrev_b64_e32 v[16:17], 4, v[26:27]
	s_delay_alu instid0(VALU_DEP_1) | instskip(SKIP_1) | instid1(VALU_DEP_2)
	v_add_co_u32 v28, vcc_lo, s2, v16
	s_wait_alu 0xfffd
	v_add_co_ci_u32_e32 v29, vcc_lo, s3, v17, vcc_lo
	ds_load_b128 v[16:19], v117 offset:80
	s_lshl_b64 s[2:3], s[20:21], 4
	v_mad_co_u64_u32 v[30:31], null, s20, 48, v[28:29]
	global_store_b128 v[28:29], v[0:3], off
	ds_load_b128 v[0:3], v117 offset:112
	v_mad_co_u64_u32 v[38:39], null, 0x50, s20, v[28:29]
	v_mov_b32_e32 v24, v31
	s_wait_alu 0xfffe
	v_add_co_u32 v31, vcc_lo, v28, s2
	s_wait_alu 0xfffd
	v_add_co_ci_u32_e32 v32, vcc_lo, s3, v29, vcc_lo
	v_mad_co_u64_u32 v[33:34], null, s21, 48, v[24:25]
	ds_load_b128 v[24:27], v117 offset:96
	global_store_b128 v[31:32], v[4:7], off
	s_wait_dscnt 0x2
	v_mul_f64_e32 v[34:35], s[42:43], v[18:19]
	v_mul_f64_e32 v[36:37], s[42:43], v[16:17]
	v_add_co_u32 v4, vcc_lo, v28, s22
	v_mov_b32_e32 v31, v33
	s_wait_alu 0xfffd
	v_add_co_ci_u32_e32 v5, vcc_lo, s23, v29, vcc_lo
	s_lshl_b64 s[2:3], s[20:21], 6
	s_wait_alu 0xfffe
	v_add_co_u32 v32, vcc_lo, v28, s2
	s_clause 0x1
	global_store_b128 v[4:5], v[8:11], off
	global_store_b128 v[30:31], v[12:15], off
	s_wait_alu 0xfffd
	v_add_co_ci_u32_e32 v33, vcc_lo, s3, v29, vcc_lo
	ds_load_b128 v[4:7], v117 offset:128
	s_wait_dscnt 0x2
	v_mul_f64_e32 v[30:31], s[50:51], v[2:3]
	v_mov_b32_e32 v8, v39
	s_wait_dscnt 0x1
	v_mul_f64_e32 v[12:13], s[46:47], v[26:27]
	v_mul_f64_e32 v[14:15], s[46:47], v[24:25]
	global_store_b128 v[32:33], v[20:23], off
	v_mul_f64_e32 v[20:21], s[50:51], v[0:1]
	v_mad_co_u64_u32 v[8:9], null, 0x50, s21, v[8:9]
	s_delay_alu instid0(VALU_DEP_1)
	v_mov_b32_e32 v39, v8
	ds_load_b128 v[8:11], v117 offset:144
	s_wait_dscnt 0x1
	v_mul_f64_e32 v[22:23], s[6:7], v[6:7]
	v_mul_f64_e32 v[32:33], s[6:7], v[4:5]
	v_fma_f64 v[16:17], s[40:41], v[16:17], v[34:35]
	v_fma_f64 v[18:19], s[40:41], v[18:19], -v[36:37]
	v_fma_f64 v[30:31], s[48:49], v[0:1], v[30:31]
	v_fma_f64 v[24:25], s[44:45], v[24:25], v[12:13]
	v_fma_f64 v[26:27], s[44:45], v[26:27], -v[14:15]
	ds_load_b128 v[12:15], v117 offset:160
	v_fma_f64 v[20:21], s[48:49], v[2:3], -v[20:21]
	s_wait_dscnt 0x1
	v_mul_f64_e32 v[34:35], s[10:11], v[10:11]
	v_mul_f64_e32 v[36:37], s[10:11], v[8:9]
	v_fma_f64 v[22:23], s[4:5], v[4:5], v[22:23]
	v_fma_f64 v[32:33], s[4:5], v[6:7], -v[32:33]
	ds_load_b128 v[4:7], v117 offset:176
	v_mul_f64_e32 v[0:1], s[0:1], v[16:17]
	v_mul_f64_e32 v[2:3], s[0:1], v[18:19]
	s_wait_dscnt 0x1
	v_mul_f64_e32 v[16:17], s[14:15], v[12:13]
	v_mul_f64_e32 v[40:41], s[14:15], v[14:15]
	v_fma_f64 v[8:9], s[8:9], v[8:9], v[34:35]
	v_fma_f64 v[10:11], s[8:9], v[10:11], -v[36:37]
	global_store_b128 v[38:39], v[0:3], off
	ds_load_b128 v[0:3], v117 offset:192
	v_fma_f64 v[14:15], s[12:13], v[14:15], -v[16:17]
	s_wait_dscnt 0x1
	v_mul_f64_e32 v[16:17], s[18:19], v[6:7]
	v_mul_f64_e32 v[18:19], s[18:19], v[4:5]
	v_fma_f64 v[12:13], s[12:13], v[12:13], v[40:41]
	v_mad_co_u64_u32 v[38:39], null, 0xa0, s20, v[28:29]
	v_mad_co_u64_u32 v[40:41], null, 0xb0, s20, v[28:29]
	s_wait_dscnt 0x0
	v_mul_f64_e32 v[34:35], s[86:87], v[2:3]
	v_mul_f64_e32 v[36:37], s[86:87], v[0:1]
	;; [unrolled: 1-line block ×5, first 2 shown]
	v_fma_f64 v[16:17], s[16:17], v[4:5], v[16:17]
	v_fma_f64 v[18:19], s[16:17], v[6:7], -v[18:19]
	v_mul_f64_e32 v[4:5], s[0:1], v[24:25]
	v_mul_f64_e32 v[6:7], s[0:1], v[26:27]
	v_mad_co_u64_u32 v[24:25], null, 0x60, s20, v[28:29]
	v_mul_f64_e32 v[12:13], s[0:1], v[12:13]
	v_fma_f64 v[26:27], s[84:85], v[0:1], v[34:35]
	s_delay_alu instid0(VALU_DEP_3) | instskip(SKIP_2) | instid1(VALU_DEP_3)
	v_mov_b32_e32 v0, v25
	v_fma_f64 v[34:35], s[84:85], v[2:3], -v[36:37]
	v_mad_co_u64_u32 v[36:37], null, 0x70, s20, v[28:29]
	v_mad_co_u64_u32 v[0:1], null, 0x60, s21, v[0:1]
	s_delay_alu instid0(VALU_DEP_1)
	v_mov_b32_e32 v25, v0
	v_mul_f64_e32 v[16:17], s[0:1], v[16:17]
	v_mul_f64_e32 v[18:19], s[0:1], v[18:19]
	global_store_b128 v[24:25], v[4:7], off
	v_mad_co_u64_u32 v[24:25], null, 0x90, s20, v[28:29]
	v_mov_b32_e32 v0, v37
	v_mul_f64_e32 v[4:5], s[0:1], v[22:23]
	v_mul_f64_e32 v[6:7], s[0:1], v[32:33]
	s_delay_alu instid0(VALU_DEP_3) | instskip(SKIP_1) | instid1(VALU_DEP_1)
	v_mad_co_u64_u32 v[0:1], null, 0x70, s21, v[0:1]
	v_mov_b32_e32 v1, v25
	v_mad_co_u64_u32 v[1:2], null, 0x90, s21, v[1:2]
	s_delay_alu instid0(VALU_DEP_3) | instskip(SKIP_1) | instid1(VALU_DEP_2)
	v_dual_mov_b32 v37, v0 :: v_dual_mov_b32 v0, v39
	v_mul_f64_e32 v[22:23], s[0:1], v[34:35]
	v_mad_co_u64_u32 v[2:3], null, 0xa0, s21, v[0:1]
	v_mov_b32_e32 v25, v1
	v_mul_f64_e32 v[0:1], s[0:1], v[30:31]
	s_delay_alu instid0(VALU_DEP_3) | instskip(SKIP_4) | instid1(VALU_DEP_1)
	v_mov_b32_e32 v39, v2
	v_mul_f64_e32 v[2:3], s[0:1], v[20:21]
	v_mul_f64_e32 v[20:21], s[0:1], v[26:27]
	v_mov_b32_e32 v26, v41
	s_lshl_b64 s[0:1], s[20:21], 7
	v_mad_co_u64_u32 v[26:27], null, 0xb0, s21, v[26:27]
	s_delay_alu instid0(VALU_DEP_1)
	v_mov_b32_e32 v41, v26
	s_wait_alu 0xfffe
	v_add_co_u32 v26, vcc_lo, v28, s0
	s_wait_alu 0xfffd
	v_add_co_ci_u32_e32 v27, vcc_lo, s1, v29, vcc_lo
	v_mad_co_u64_u32 v[28:29], null, 0xc0, s20, v[28:29]
	s_delay_alu instid0(VALU_DEP_1)
	v_mad_co_u64_u32 v[29:30], null, 0xc0, s21, v[29:30]
	s_clause 0x5
	global_store_b128 v[36:37], v[0:3], off
	global_store_b128 v[26:27], v[4:7], off
	;; [unrolled: 1-line block ×6, first 2 shown]
.LBB0_2:
	s_nop 0
	s_sendmsg sendmsg(MSG_DEALLOC_VGPRS)
	s_endpgm
	.section	.rodata,"a",@progbits
	.p2align	6, 0x0
	.amdhsa_kernel bluestein_single_fwd_len13_dim1_dp_op_CI_CI
		.amdhsa_group_segment_fixed_size 13312
		.amdhsa_private_segment_fixed_size 0
		.amdhsa_kernarg_size 104
		.amdhsa_user_sgpr_count 2
		.amdhsa_user_sgpr_dispatch_ptr 0
		.amdhsa_user_sgpr_queue_ptr 0
		.amdhsa_user_sgpr_kernarg_segment_ptr 1
		.amdhsa_user_sgpr_dispatch_id 0
		.amdhsa_user_sgpr_private_segment_size 0
		.amdhsa_wavefront_size32 1
		.amdhsa_uses_dynamic_stack 0
		.amdhsa_enable_private_segment 0
		.amdhsa_system_sgpr_workgroup_id_x 1
		.amdhsa_system_sgpr_workgroup_id_y 0
		.amdhsa_system_sgpr_workgroup_id_z 0
		.amdhsa_system_sgpr_workgroup_info 0
		.amdhsa_system_vgpr_workitem_id 0
		.amdhsa_next_free_vgpr 235
		.amdhsa_next_free_sgpr 104
		.amdhsa_reserve_vcc 1
		.amdhsa_float_round_mode_32 0
		.amdhsa_float_round_mode_16_64 0
		.amdhsa_float_denorm_mode_32 3
		.amdhsa_float_denorm_mode_16_64 3
		.amdhsa_fp16_overflow 0
		.amdhsa_workgroup_processor_mode 1
		.amdhsa_memory_ordered 1
		.amdhsa_forward_progress 0
		.amdhsa_round_robin_scheduling 0
		.amdhsa_exception_fp_ieee_invalid_op 0
		.amdhsa_exception_fp_denorm_src 0
		.amdhsa_exception_fp_ieee_div_zero 0
		.amdhsa_exception_fp_ieee_overflow 0
		.amdhsa_exception_fp_ieee_underflow 0
		.amdhsa_exception_fp_ieee_inexact 0
		.amdhsa_exception_int_div_zero 0
	.end_amdhsa_kernel
	.text
.Lfunc_end0:
	.size	bluestein_single_fwd_len13_dim1_dp_op_CI_CI, .Lfunc_end0-bluestein_single_fwd_len13_dim1_dp_op_CI_CI
                                        ; -- End function
	.section	.AMDGPU.csdata,"",@progbits
; Kernel info:
; codeLenInByte = 9148
; NumSgprs: 106
; NumVgprs: 235
; ScratchSize: 0
; MemoryBound: 0
; FloatMode: 240
; IeeeMode: 1
; LDSByteSize: 13312 bytes/workgroup (compile time only)
; SGPRBlocks: 13
; VGPRBlocks: 29
; NumSGPRsForWavesPerEU: 106
; NumVGPRsForWavesPerEU: 235
; Occupancy: 5
; WaveLimiterHint : 1
; COMPUTE_PGM_RSRC2:SCRATCH_EN: 0
; COMPUTE_PGM_RSRC2:USER_SGPR: 2
; COMPUTE_PGM_RSRC2:TRAP_HANDLER: 0
; COMPUTE_PGM_RSRC2:TGID_X_EN: 1
; COMPUTE_PGM_RSRC2:TGID_Y_EN: 0
; COMPUTE_PGM_RSRC2:TGID_Z_EN: 0
; COMPUTE_PGM_RSRC2:TIDIG_COMP_CNT: 0
	.text
	.p2alignl 7, 3214868480
	.fill 96, 4, 3214868480
	.type	__hip_cuid_d9054c7a26215437,@object ; @__hip_cuid_d9054c7a26215437
	.section	.bss,"aw",@nobits
	.globl	__hip_cuid_d9054c7a26215437
__hip_cuid_d9054c7a26215437:
	.byte	0                               ; 0x0
	.size	__hip_cuid_d9054c7a26215437, 1

	.ident	"AMD clang version 19.0.0git (https://github.com/RadeonOpenCompute/llvm-project roc-6.4.0 25133 c7fe45cf4b819c5991fe208aaa96edf142730f1d)"
	.section	".note.GNU-stack","",@progbits
	.addrsig
	.addrsig_sym __hip_cuid_d9054c7a26215437
	.amdgpu_metadata
---
amdhsa.kernels:
  - .args:
      - .actual_access:  read_only
        .address_space:  global
        .offset:         0
        .size:           8
        .value_kind:     global_buffer
      - .actual_access:  read_only
        .address_space:  global
        .offset:         8
        .size:           8
        .value_kind:     global_buffer
      - .actual_access:  read_only
        .address_space:  global
        .offset:         16
        .size:           8
        .value_kind:     global_buffer
      - .actual_access:  read_only
        .address_space:  global
        .offset:         24
        .size:           8
        .value_kind:     global_buffer
      - .actual_access:  read_only
        .address_space:  global
        .offset:         32
        .size:           8
        .value_kind:     global_buffer
      - .offset:         40
        .size:           8
        .value_kind:     by_value
      - .address_space:  global
        .offset:         48
        .size:           8
        .value_kind:     global_buffer
      - .address_space:  global
        .offset:         56
        .size:           8
        .value_kind:     global_buffer
      - .address_space:  global
        .offset:         64
        .size:           8
        .value_kind:     global_buffer
      - .address_space:  global
        .offset:         72
        .size:           8
        .value_kind:     global_buffer
      - .offset:         80
        .size:           4
        .value_kind:     by_value
      - .address_space:  global
        .offset:         88
        .size:           8
        .value_kind:     global_buffer
      - .address_space:  global
        .offset:         96
        .size:           8
        .value_kind:     global_buffer
    .group_segment_fixed_size: 13312
    .kernarg_segment_align: 8
    .kernarg_segment_size: 104
    .language:       OpenCL C
    .language_version:
      - 2
      - 0
    .max_flat_workgroup_size: 64
    .name:           bluestein_single_fwd_len13_dim1_dp_op_CI_CI
    .private_segment_fixed_size: 0
    .sgpr_count:     106
    .sgpr_spill_count: 18
    .symbol:         bluestein_single_fwd_len13_dim1_dp_op_CI_CI.kd
    .uniform_work_group_size: 1
    .uses_dynamic_stack: false
    .vgpr_count:     235
    .vgpr_spill_count: 0
    .wavefront_size: 32
    .workgroup_processor_mode: 1
amdhsa.target:   amdgcn-amd-amdhsa--gfx1201
amdhsa.version:
  - 1
  - 2
...

	.end_amdgpu_metadata
